;; amdgpu-corpus repo=ROCm/rocThrust kind=compiled arch=gfx942 opt=O3
	.text
	.amdgcn_target "amdgcn-amd-amdhsa--gfx942"
	.amdhsa_code_object_version 6
	.section	.text._ZN6thrust23THRUST_200600_302600_NS11hip_rocprim14__parallel_for6kernelILj256ENS1_10for_each_fINS0_10device_ptrINS0_5tupleIffNS0_9null_typeES7_S7_S7_S7_S7_S7_S7_EEEENS0_6detail16wrapped_functionINSA_23allocator_traits_detail24construct1_via_allocatorINS0_16device_allocatorIS8_EEEEvEEEEmLj1EEEvT0_T1_SK_,"axG",@progbits,_ZN6thrust23THRUST_200600_302600_NS11hip_rocprim14__parallel_for6kernelILj256ENS1_10for_each_fINS0_10device_ptrINS0_5tupleIffNS0_9null_typeES7_S7_S7_S7_S7_S7_S7_EEEENS0_6detail16wrapped_functionINSA_23allocator_traits_detail24construct1_via_allocatorINS0_16device_allocatorIS8_EEEEvEEEEmLj1EEEvT0_T1_SK_,comdat
	.protected	_ZN6thrust23THRUST_200600_302600_NS11hip_rocprim14__parallel_for6kernelILj256ENS1_10for_each_fINS0_10device_ptrINS0_5tupleIffNS0_9null_typeES7_S7_S7_S7_S7_S7_S7_EEEENS0_6detail16wrapped_functionINSA_23allocator_traits_detail24construct1_via_allocatorINS0_16device_allocatorIS8_EEEEvEEEEmLj1EEEvT0_T1_SK_ ; -- Begin function _ZN6thrust23THRUST_200600_302600_NS11hip_rocprim14__parallel_for6kernelILj256ENS1_10for_each_fINS0_10device_ptrINS0_5tupleIffNS0_9null_typeES7_S7_S7_S7_S7_S7_S7_EEEENS0_6detail16wrapped_functionINSA_23allocator_traits_detail24construct1_via_allocatorINS0_16device_allocatorIS8_EEEEvEEEEmLj1EEEvT0_T1_SK_
	.globl	_ZN6thrust23THRUST_200600_302600_NS11hip_rocprim14__parallel_for6kernelILj256ENS1_10for_each_fINS0_10device_ptrINS0_5tupleIffNS0_9null_typeES7_S7_S7_S7_S7_S7_S7_EEEENS0_6detail16wrapped_functionINSA_23allocator_traits_detail24construct1_via_allocatorINS0_16device_allocatorIS8_EEEEvEEEEmLj1EEEvT0_T1_SK_
	.p2align	8
	.type	_ZN6thrust23THRUST_200600_302600_NS11hip_rocprim14__parallel_for6kernelILj256ENS1_10for_each_fINS0_10device_ptrINS0_5tupleIffNS0_9null_typeES7_S7_S7_S7_S7_S7_S7_EEEENS0_6detail16wrapped_functionINSA_23allocator_traits_detail24construct1_via_allocatorINS0_16device_allocatorIS8_EEEEvEEEEmLj1EEEvT0_T1_SK_,@function
_ZN6thrust23THRUST_200600_302600_NS11hip_rocprim14__parallel_for6kernelILj256ENS1_10for_each_fINS0_10device_ptrINS0_5tupleIffNS0_9null_typeES7_S7_S7_S7_S7_S7_S7_EEEENS0_6detail16wrapped_functionINSA_23allocator_traits_detail24construct1_via_allocatorINS0_16device_allocatorIS8_EEEEvEEEEmLj1EEEvT0_T1_SK_: ; @_ZN6thrust23THRUST_200600_302600_NS11hip_rocprim14__parallel_for6kernelILj256ENS1_10for_each_fINS0_10device_ptrINS0_5tupleIffNS0_9null_typeES7_S7_S7_S7_S7_S7_S7_EEEENS0_6detail16wrapped_functionINSA_23allocator_traits_detail24construct1_via_allocatorINS0_16device_allocatorIS8_EEEEvEEEEmLj1EEEvT0_T1_SK_
; %bb.0:
	s_load_dwordx4 s[8:11], s[0:1], 0x10
	s_load_dwordx2 s[4:5], s[0:1], 0x0
	s_lshl_b32 s0, s2, 8
	v_mov_b64_e32 v[2:3], 0x100
	s_waitcnt lgkmcnt(0)
	s_add_u32 s2, s0, s10
	s_addc_u32 s3, 0, s11
	s_sub_u32 s0, s8, s2
	s_subb_u32 s1, s9, s3
	v_cmp_lt_u64_e32 vcc, s[0:1], v[2:3]
	s_cbranch_vccz .LBB0_4
; %bb.1:
	v_cmp_gt_u32_e32 vcc, s0, v0
	s_mov_b64 s[6:7], 0
	s_mov_b64 s[0:1], 0
                                        ; implicit-def: $vgpr2_vgpr3
	s_and_saveexec_b64 s[8:9], vcc
	s_xor_b64 s[8:9], exec, s[8:9]
; %bb.2:
	s_lshl_b64 s[10:11], s[2:3], 3
	s_add_u32 s10, s4, s10
	s_addc_u32 s11, s5, s11
	v_lshlrev_b32_e32 v2, 3, v0
	v_mov_b32_e32 v3, 0
	s_mov_b64 s[0:1], exec
	v_lshl_add_u64 v[2:3], s[10:11], 0, v[2:3]
; %bb.3:
	s_or_b64 exec, exec, s[8:9]
	s_and_b64 vcc, exec, s[6:7]
	s_cbranch_vccnz .LBB0_5
	s_branch .LBB0_6
.LBB0_4:
	s_mov_b64 s[0:1], 0
                                        ; implicit-def: $vgpr2_vgpr3
	s_cbranch_execz .LBB0_6
.LBB0_5:
	s_lshl_b64 s[2:3], s[2:3], 3
	s_add_u32 s2, s4, s2
	s_addc_u32 s3, s5, s3
	v_lshlrev_b32_e32 v0, 3, v0
	v_mov_b32_e32 v1, 0
	v_lshl_add_u64 v[2:3], s[2:3], 0, v[0:1]
	s_or_b64 s[0:1], s[0:1], exec
.LBB0_6:
	s_and_saveexec_b64 s[2:3], s[0:1]
	s_cbranch_execnz .LBB0_8
; %bb.7:
	s_endpgm
.LBB0_8:
	v_mov_b32_e32 v0, 0
	v_mov_b32_e32 v1, v0
	flat_store_dwordx2 v[2:3], v[0:1]
	s_endpgm
	.section	.rodata,"a",@progbits
	.p2align	6, 0x0
	.amdhsa_kernel _ZN6thrust23THRUST_200600_302600_NS11hip_rocprim14__parallel_for6kernelILj256ENS1_10for_each_fINS0_10device_ptrINS0_5tupleIffNS0_9null_typeES7_S7_S7_S7_S7_S7_S7_EEEENS0_6detail16wrapped_functionINSA_23allocator_traits_detail24construct1_via_allocatorINS0_16device_allocatorIS8_EEEEvEEEEmLj1EEEvT0_T1_SK_
		.amdhsa_group_segment_fixed_size 0
		.amdhsa_private_segment_fixed_size 0
		.amdhsa_kernarg_size 32
		.amdhsa_user_sgpr_count 2
		.amdhsa_user_sgpr_dispatch_ptr 0
		.amdhsa_user_sgpr_queue_ptr 0
		.amdhsa_user_sgpr_kernarg_segment_ptr 1
		.amdhsa_user_sgpr_dispatch_id 0
		.amdhsa_user_sgpr_kernarg_preload_length 0
		.amdhsa_user_sgpr_kernarg_preload_offset 0
		.amdhsa_user_sgpr_private_segment_size 0
		.amdhsa_uses_dynamic_stack 0
		.amdhsa_enable_private_segment 0
		.amdhsa_system_sgpr_workgroup_id_x 1
		.amdhsa_system_sgpr_workgroup_id_y 0
		.amdhsa_system_sgpr_workgroup_id_z 0
		.amdhsa_system_sgpr_workgroup_info 0
		.amdhsa_system_vgpr_workitem_id 0
		.amdhsa_next_free_vgpr 4
		.amdhsa_next_free_sgpr 12
		.amdhsa_accum_offset 4
		.amdhsa_reserve_vcc 1
		.amdhsa_float_round_mode_32 0
		.amdhsa_float_round_mode_16_64 0
		.amdhsa_float_denorm_mode_32 3
		.amdhsa_float_denorm_mode_16_64 3
		.amdhsa_dx10_clamp 1
		.amdhsa_ieee_mode 1
		.amdhsa_fp16_overflow 0
		.amdhsa_tg_split 0
		.amdhsa_exception_fp_ieee_invalid_op 0
		.amdhsa_exception_fp_denorm_src 0
		.amdhsa_exception_fp_ieee_div_zero 0
		.amdhsa_exception_fp_ieee_overflow 0
		.amdhsa_exception_fp_ieee_underflow 0
		.amdhsa_exception_fp_ieee_inexact 0
		.amdhsa_exception_int_div_zero 0
	.end_amdhsa_kernel
	.section	.text._ZN6thrust23THRUST_200600_302600_NS11hip_rocprim14__parallel_for6kernelILj256ENS1_10for_each_fINS0_10device_ptrINS0_5tupleIffNS0_9null_typeES7_S7_S7_S7_S7_S7_S7_EEEENS0_6detail16wrapped_functionINSA_23allocator_traits_detail24construct1_via_allocatorINS0_16device_allocatorIS8_EEEEvEEEEmLj1EEEvT0_T1_SK_,"axG",@progbits,_ZN6thrust23THRUST_200600_302600_NS11hip_rocprim14__parallel_for6kernelILj256ENS1_10for_each_fINS0_10device_ptrINS0_5tupleIffNS0_9null_typeES7_S7_S7_S7_S7_S7_S7_EEEENS0_6detail16wrapped_functionINSA_23allocator_traits_detail24construct1_via_allocatorINS0_16device_allocatorIS8_EEEEvEEEEmLj1EEEvT0_T1_SK_,comdat
.Lfunc_end0:
	.size	_ZN6thrust23THRUST_200600_302600_NS11hip_rocprim14__parallel_for6kernelILj256ENS1_10for_each_fINS0_10device_ptrINS0_5tupleIffNS0_9null_typeES7_S7_S7_S7_S7_S7_S7_EEEENS0_6detail16wrapped_functionINSA_23allocator_traits_detail24construct1_via_allocatorINS0_16device_allocatorIS8_EEEEvEEEEmLj1EEEvT0_T1_SK_, .Lfunc_end0-_ZN6thrust23THRUST_200600_302600_NS11hip_rocprim14__parallel_for6kernelILj256ENS1_10for_each_fINS0_10device_ptrINS0_5tupleIffNS0_9null_typeES7_S7_S7_S7_S7_S7_S7_EEEENS0_6detail16wrapped_functionINSA_23allocator_traits_detail24construct1_via_allocatorINS0_16device_allocatorIS8_EEEEvEEEEmLj1EEEvT0_T1_SK_
                                        ; -- End function
	.section	.AMDGPU.csdata,"",@progbits
; Kernel info:
; codeLenInByte = 196
; NumSgprs: 18
; NumVgprs: 4
; NumAgprs: 0
; TotalNumVgprs: 4
; ScratchSize: 0
; MemoryBound: 0
; FloatMode: 240
; IeeeMode: 1
; LDSByteSize: 0 bytes/workgroup (compile time only)
; SGPRBlocks: 2
; VGPRBlocks: 0
; NumSGPRsForWavesPerEU: 18
; NumVGPRsForWavesPerEU: 4
; AccumOffset: 4
; Occupancy: 8
; WaveLimiterHint : 0
; COMPUTE_PGM_RSRC2:SCRATCH_EN: 0
; COMPUTE_PGM_RSRC2:USER_SGPR: 2
; COMPUTE_PGM_RSRC2:TRAP_HANDLER: 0
; COMPUTE_PGM_RSRC2:TGID_X_EN: 1
; COMPUTE_PGM_RSRC2:TGID_Y_EN: 0
; COMPUTE_PGM_RSRC2:TGID_Z_EN: 0
; COMPUTE_PGM_RSRC2:TIDIG_COMP_CNT: 0
; COMPUTE_PGM_RSRC3_GFX90A:ACCUM_OFFSET: 0
; COMPUTE_PGM_RSRC3_GFX90A:TG_SPLIT: 0
	.section	.text._ZN6thrust23THRUST_200600_302600_NS11hip_rocprim14__parallel_for6kernelILj256ENS1_10for_each_fINS0_10device_ptrINS0_5tupleIffNS0_9null_typeES7_S7_S7_S7_S7_S7_S7_EEEENS0_6detail16wrapped_functionINSA_23allocator_traits_detail5gozerEvEEEElLj1EEEvT0_T1_SH_,"axG",@progbits,_ZN6thrust23THRUST_200600_302600_NS11hip_rocprim14__parallel_for6kernelILj256ENS1_10for_each_fINS0_10device_ptrINS0_5tupleIffNS0_9null_typeES7_S7_S7_S7_S7_S7_S7_EEEENS0_6detail16wrapped_functionINSA_23allocator_traits_detail5gozerEvEEEElLj1EEEvT0_T1_SH_,comdat
	.protected	_ZN6thrust23THRUST_200600_302600_NS11hip_rocprim14__parallel_for6kernelILj256ENS1_10for_each_fINS0_10device_ptrINS0_5tupleIffNS0_9null_typeES7_S7_S7_S7_S7_S7_S7_EEEENS0_6detail16wrapped_functionINSA_23allocator_traits_detail5gozerEvEEEElLj1EEEvT0_T1_SH_ ; -- Begin function _ZN6thrust23THRUST_200600_302600_NS11hip_rocprim14__parallel_for6kernelILj256ENS1_10for_each_fINS0_10device_ptrINS0_5tupleIffNS0_9null_typeES7_S7_S7_S7_S7_S7_S7_EEEENS0_6detail16wrapped_functionINSA_23allocator_traits_detail5gozerEvEEEElLj1EEEvT0_T1_SH_
	.globl	_ZN6thrust23THRUST_200600_302600_NS11hip_rocprim14__parallel_for6kernelILj256ENS1_10for_each_fINS0_10device_ptrINS0_5tupleIffNS0_9null_typeES7_S7_S7_S7_S7_S7_S7_EEEENS0_6detail16wrapped_functionINSA_23allocator_traits_detail5gozerEvEEEElLj1EEEvT0_T1_SH_
	.p2align	8
	.type	_ZN6thrust23THRUST_200600_302600_NS11hip_rocprim14__parallel_for6kernelILj256ENS1_10for_each_fINS0_10device_ptrINS0_5tupleIffNS0_9null_typeES7_S7_S7_S7_S7_S7_S7_EEEENS0_6detail16wrapped_functionINSA_23allocator_traits_detail5gozerEvEEEElLj1EEEvT0_T1_SH_,@function
_ZN6thrust23THRUST_200600_302600_NS11hip_rocprim14__parallel_for6kernelILj256ENS1_10for_each_fINS0_10device_ptrINS0_5tupleIffNS0_9null_typeES7_S7_S7_S7_S7_S7_S7_EEEENS0_6detail16wrapped_functionINSA_23allocator_traits_detail5gozerEvEEEElLj1EEEvT0_T1_SH_: ; @_ZN6thrust23THRUST_200600_302600_NS11hip_rocprim14__parallel_for6kernelILj256ENS1_10for_each_fINS0_10device_ptrINS0_5tupleIffNS0_9null_typeES7_S7_S7_S7_S7_S7_S7_EEEENS0_6detail16wrapped_functionINSA_23allocator_traits_detail5gozerEvEEEElLj1EEEvT0_T1_SH_
; %bb.0:
	s_endpgm
	.section	.rodata,"a",@progbits
	.p2align	6, 0x0
	.amdhsa_kernel _ZN6thrust23THRUST_200600_302600_NS11hip_rocprim14__parallel_for6kernelILj256ENS1_10for_each_fINS0_10device_ptrINS0_5tupleIffNS0_9null_typeES7_S7_S7_S7_S7_S7_S7_EEEENS0_6detail16wrapped_functionINSA_23allocator_traits_detail5gozerEvEEEElLj1EEEvT0_T1_SH_
		.amdhsa_group_segment_fixed_size 0
		.amdhsa_private_segment_fixed_size 0
		.amdhsa_kernarg_size 32
		.amdhsa_user_sgpr_count 2
		.amdhsa_user_sgpr_dispatch_ptr 0
		.amdhsa_user_sgpr_queue_ptr 0
		.amdhsa_user_sgpr_kernarg_segment_ptr 1
		.amdhsa_user_sgpr_dispatch_id 0
		.amdhsa_user_sgpr_kernarg_preload_length 0
		.amdhsa_user_sgpr_kernarg_preload_offset 0
		.amdhsa_user_sgpr_private_segment_size 0
		.amdhsa_uses_dynamic_stack 0
		.amdhsa_enable_private_segment 0
		.amdhsa_system_sgpr_workgroup_id_x 1
		.amdhsa_system_sgpr_workgroup_id_y 0
		.amdhsa_system_sgpr_workgroup_id_z 0
		.amdhsa_system_sgpr_workgroup_info 0
		.amdhsa_system_vgpr_workitem_id 0
		.amdhsa_next_free_vgpr 1
		.amdhsa_next_free_sgpr 0
		.amdhsa_accum_offset 4
		.amdhsa_reserve_vcc 0
		.amdhsa_float_round_mode_32 0
		.amdhsa_float_round_mode_16_64 0
		.amdhsa_float_denorm_mode_32 3
		.amdhsa_float_denorm_mode_16_64 3
		.amdhsa_dx10_clamp 1
		.amdhsa_ieee_mode 1
		.amdhsa_fp16_overflow 0
		.amdhsa_tg_split 0
		.amdhsa_exception_fp_ieee_invalid_op 0
		.amdhsa_exception_fp_denorm_src 0
		.amdhsa_exception_fp_ieee_div_zero 0
		.amdhsa_exception_fp_ieee_overflow 0
		.amdhsa_exception_fp_ieee_underflow 0
		.amdhsa_exception_fp_ieee_inexact 0
		.amdhsa_exception_int_div_zero 0
	.end_amdhsa_kernel
	.section	.text._ZN6thrust23THRUST_200600_302600_NS11hip_rocprim14__parallel_for6kernelILj256ENS1_10for_each_fINS0_10device_ptrINS0_5tupleIffNS0_9null_typeES7_S7_S7_S7_S7_S7_S7_EEEENS0_6detail16wrapped_functionINSA_23allocator_traits_detail5gozerEvEEEElLj1EEEvT0_T1_SH_,"axG",@progbits,_ZN6thrust23THRUST_200600_302600_NS11hip_rocprim14__parallel_for6kernelILj256ENS1_10for_each_fINS0_10device_ptrINS0_5tupleIffNS0_9null_typeES7_S7_S7_S7_S7_S7_S7_EEEENS0_6detail16wrapped_functionINSA_23allocator_traits_detail5gozerEvEEEElLj1EEEvT0_T1_SH_,comdat
.Lfunc_end1:
	.size	_ZN6thrust23THRUST_200600_302600_NS11hip_rocprim14__parallel_for6kernelILj256ENS1_10for_each_fINS0_10device_ptrINS0_5tupleIffNS0_9null_typeES7_S7_S7_S7_S7_S7_S7_EEEENS0_6detail16wrapped_functionINSA_23allocator_traits_detail5gozerEvEEEElLj1EEEvT0_T1_SH_, .Lfunc_end1-_ZN6thrust23THRUST_200600_302600_NS11hip_rocprim14__parallel_for6kernelILj256ENS1_10for_each_fINS0_10device_ptrINS0_5tupleIffNS0_9null_typeES7_S7_S7_S7_S7_S7_S7_EEEENS0_6detail16wrapped_functionINSA_23allocator_traits_detail5gozerEvEEEElLj1EEEvT0_T1_SH_
                                        ; -- End function
	.section	.AMDGPU.csdata,"",@progbits
; Kernel info:
; codeLenInByte = 4
; NumSgprs: 6
; NumVgprs: 0
; NumAgprs: 0
; TotalNumVgprs: 0
; ScratchSize: 0
; MemoryBound: 0
; FloatMode: 240
; IeeeMode: 1
; LDSByteSize: 0 bytes/workgroup (compile time only)
; SGPRBlocks: 0
; VGPRBlocks: 0
; NumSGPRsForWavesPerEU: 6
; NumVGPRsForWavesPerEU: 1
; AccumOffset: 4
; Occupancy: 8
; WaveLimiterHint : 0
; COMPUTE_PGM_RSRC2:SCRATCH_EN: 0
; COMPUTE_PGM_RSRC2:USER_SGPR: 2
; COMPUTE_PGM_RSRC2:TRAP_HANDLER: 0
; COMPUTE_PGM_RSRC2:TGID_X_EN: 1
; COMPUTE_PGM_RSRC2:TGID_Y_EN: 0
; COMPUTE_PGM_RSRC2:TGID_Z_EN: 0
; COMPUTE_PGM_RSRC2:TIDIG_COMP_CNT: 0
; COMPUTE_PGM_RSRC3_GFX90A:ACCUM_OFFSET: 0
; COMPUTE_PGM_RSRC3_GFX90A:TG_SPLIT: 0
	.section	.text._ZN6thrust23THRUST_200600_302600_NS11hip_rocprim14__parallel_for6kernelILj256ENS1_10for_each_fINS0_7pointerINS0_5tupleIffNS0_9null_typeES7_S7_S7_S7_S7_S7_S7_EENS1_3tagENS0_11use_defaultESA_EENS0_6detail16wrapped_functionINSC_23allocator_traits_detail24construct1_via_allocatorINSC_18no_throw_allocatorINSC_19temporary_allocatorIS8_S9_EEEEEEvEEEEmLj1EEEvT0_T1_SO_,"axG",@progbits,_ZN6thrust23THRUST_200600_302600_NS11hip_rocprim14__parallel_for6kernelILj256ENS1_10for_each_fINS0_7pointerINS0_5tupleIffNS0_9null_typeES7_S7_S7_S7_S7_S7_S7_EENS1_3tagENS0_11use_defaultESA_EENS0_6detail16wrapped_functionINSC_23allocator_traits_detail24construct1_via_allocatorINSC_18no_throw_allocatorINSC_19temporary_allocatorIS8_S9_EEEEEEvEEEEmLj1EEEvT0_T1_SO_,comdat
	.protected	_ZN6thrust23THRUST_200600_302600_NS11hip_rocprim14__parallel_for6kernelILj256ENS1_10for_each_fINS0_7pointerINS0_5tupleIffNS0_9null_typeES7_S7_S7_S7_S7_S7_S7_EENS1_3tagENS0_11use_defaultESA_EENS0_6detail16wrapped_functionINSC_23allocator_traits_detail24construct1_via_allocatorINSC_18no_throw_allocatorINSC_19temporary_allocatorIS8_S9_EEEEEEvEEEEmLj1EEEvT0_T1_SO_ ; -- Begin function _ZN6thrust23THRUST_200600_302600_NS11hip_rocprim14__parallel_for6kernelILj256ENS1_10for_each_fINS0_7pointerINS0_5tupleIffNS0_9null_typeES7_S7_S7_S7_S7_S7_S7_EENS1_3tagENS0_11use_defaultESA_EENS0_6detail16wrapped_functionINSC_23allocator_traits_detail24construct1_via_allocatorINSC_18no_throw_allocatorINSC_19temporary_allocatorIS8_S9_EEEEEEvEEEEmLj1EEEvT0_T1_SO_
	.globl	_ZN6thrust23THRUST_200600_302600_NS11hip_rocprim14__parallel_for6kernelILj256ENS1_10for_each_fINS0_7pointerINS0_5tupleIffNS0_9null_typeES7_S7_S7_S7_S7_S7_S7_EENS1_3tagENS0_11use_defaultESA_EENS0_6detail16wrapped_functionINSC_23allocator_traits_detail24construct1_via_allocatorINSC_18no_throw_allocatorINSC_19temporary_allocatorIS8_S9_EEEEEEvEEEEmLj1EEEvT0_T1_SO_
	.p2align	8
	.type	_ZN6thrust23THRUST_200600_302600_NS11hip_rocprim14__parallel_for6kernelILj256ENS1_10for_each_fINS0_7pointerINS0_5tupleIffNS0_9null_typeES7_S7_S7_S7_S7_S7_S7_EENS1_3tagENS0_11use_defaultESA_EENS0_6detail16wrapped_functionINSC_23allocator_traits_detail24construct1_via_allocatorINSC_18no_throw_allocatorINSC_19temporary_allocatorIS8_S9_EEEEEEvEEEEmLj1EEEvT0_T1_SO_,@function
_ZN6thrust23THRUST_200600_302600_NS11hip_rocprim14__parallel_for6kernelILj256ENS1_10for_each_fINS0_7pointerINS0_5tupleIffNS0_9null_typeES7_S7_S7_S7_S7_S7_S7_EENS1_3tagENS0_11use_defaultESA_EENS0_6detail16wrapped_functionINSC_23allocator_traits_detail24construct1_via_allocatorINSC_18no_throw_allocatorINSC_19temporary_allocatorIS8_S9_EEEEEEvEEEEmLj1EEEvT0_T1_SO_: ; @_ZN6thrust23THRUST_200600_302600_NS11hip_rocprim14__parallel_for6kernelILj256ENS1_10for_each_fINS0_7pointerINS0_5tupleIffNS0_9null_typeES7_S7_S7_S7_S7_S7_S7_EENS1_3tagENS0_11use_defaultESA_EENS0_6detail16wrapped_functionINSC_23allocator_traits_detail24construct1_via_allocatorINSC_18no_throw_allocatorINSC_19temporary_allocatorIS8_S9_EEEEEEvEEEEmLj1EEEvT0_T1_SO_
; %bb.0:
	s_load_dwordx4 s[8:11], s[0:1], 0x10
	s_load_dwordx2 s[4:5], s[0:1], 0x0
	s_lshl_b32 s0, s2, 8
	v_mov_b64_e32 v[2:3], 0x100
	s_waitcnt lgkmcnt(0)
	s_add_u32 s2, s0, s10
	s_addc_u32 s3, 0, s11
	s_sub_u32 s0, s8, s2
	s_subb_u32 s1, s9, s3
	v_cmp_lt_u64_e32 vcc, s[0:1], v[2:3]
	s_cbranch_vccz .LBB2_4
; %bb.1:
	v_cmp_gt_u32_e32 vcc, s0, v0
	s_mov_b64 s[6:7], 0
	s_mov_b64 s[0:1], 0
                                        ; implicit-def: $vgpr2_vgpr3
	s_and_saveexec_b64 s[8:9], vcc
	s_xor_b64 s[8:9], exec, s[8:9]
; %bb.2:
	s_lshl_b64 s[10:11], s[2:3], 3
	s_add_u32 s10, s4, s10
	s_addc_u32 s11, s5, s11
	v_lshlrev_b32_e32 v2, 3, v0
	v_mov_b32_e32 v3, 0
	s_mov_b64 s[0:1], exec
	v_lshl_add_u64 v[2:3], s[10:11], 0, v[2:3]
; %bb.3:
	s_or_b64 exec, exec, s[8:9]
	s_and_b64 vcc, exec, s[6:7]
	s_cbranch_vccnz .LBB2_5
	s_branch .LBB2_6
.LBB2_4:
	s_mov_b64 s[0:1], 0
                                        ; implicit-def: $vgpr2_vgpr3
	s_cbranch_execz .LBB2_6
.LBB2_5:
	s_lshl_b64 s[2:3], s[2:3], 3
	s_add_u32 s2, s4, s2
	s_addc_u32 s3, s5, s3
	v_lshlrev_b32_e32 v0, 3, v0
	v_mov_b32_e32 v1, 0
	v_lshl_add_u64 v[2:3], s[2:3], 0, v[0:1]
	s_or_b64 s[0:1], s[0:1], exec
.LBB2_6:
	s_and_saveexec_b64 s[2:3], s[0:1]
	s_cbranch_execnz .LBB2_8
; %bb.7:
	s_endpgm
.LBB2_8:
	v_mov_b32_e32 v0, 0
	v_mov_b32_e32 v1, v0
	flat_store_dwordx2 v[2:3], v[0:1]
	s_endpgm
	.section	.rodata,"a",@progbits
	.p2align	6, 0x0
	.amdhsa_kernel _ZN6thrust23THRUST_200600_302600_NS11hip_rocprim14__parallel_for6kernelILj256ENS1_10for_each_fINS0_7pointerINS0_5tupleIffNS0_9null_typeES7_S7_S7_S7_S7_S7_S7_EENS1_3tagENS0_11use_defaultESA_EENS0_6detail16wrapped_functionINSC_23allocator_traits_detail24construct1_via_allocatorINSC_18no_throw_allocatorINSC_19temporary_allocatorIS8_S9_EEEEEEvEEEEmLj1EEEvT0_T1_SO_
		.amdhsa_group_segment_fixed_size 0
		.amdhsa_private_segment_fixed_size 0
		.amdhsa_kernarg_size 32
		.amdhsa_user_sgpr_count 2
		.amdhsa_user_sgpr_dispatch_ptr 0
		.amdhsa_user_sgpr_queue_ptr 0
		.amdhsa_user_sgpr_kernarg_segment_ptr 1
		.amdhsa_user_sgpr_dispatch_id 0
		.amdhsa_user_sgpr_kernarg_preload_length 0
		.amdhsa_user_sgpr_kernarg_preload_offset 0
		.amdhsa_user_sgpr_private_segment_size 0
		.amdhsa_uses_dynamic_stack 0
		.amdhsa_enable_private_segment 0
		.amdhsa_system_sgpr_workgroup_id_x 1
		.amdhsa_system_sgpr_workgroup_id_y 0
		.amdhsa_system_sgpr_workgroup_id_z 0
		.amdhsa_system_sgpr_workgroup_info 0
		.amdhsa_system_vgpr_workitem_id 0
		.amdhsa_next_free_vgpr 4
		.amdhsa_next_free_sgpr 12
		.amdhsa_accum_offset 4
		.amdhsa_reserve_vcc 1
		.amdhsa_float_round_mode_32 0
		.amdhsa_float_round_mode_16_64 0
		.amdhsa_float_denorm_mode_32 3
		.amdhsa_float_denorm_mode_16_64 3
		.amdhsa_dx10_clamp 1
		.amdhsa_ieee_mode 1
		.amdhsa_fp16_overflow 0
		.amdhsa_tg_split 0
		.amdhsa_exception_fp_ieee_invalid_op 0
		.amdhsa_exception_fp_denorm_src 0
		.amdhsa_exception_fp_ieee_div_zero 0
		.amdhsa_exception_fp_ieee_overflow 0
		.amdhsa_exception_fp_ieee_underflow 0
		.amdhsa_exception_fp_ieee_inexact 0
		.amdhsa_exception_int_div_zero 0
	.end_amdhsa_kernel
	.section	.text._ZN6thrust23THRUST_200600_302600_NS11hip_rocprim14__parallel_for6kernelILj256ENS1_10for_each_fINS0_7pointerINS0_5tupleIffNS0_9null_typeES7_S7_S7_S7_S7_S7_S7_EENS1_3tagENS0_11use_defaultESA_EENS0_6detail16wrapped_functionINSC_23allocator_traits_detail24construct1_via_allocatorINSC_18no_throw_allocatorINSC_19temporary_allocatorIS8_S9_EEEEEEvEEEEmLj1EEEvT0_T1_SO_,"axG",@progbits,_ZN6thrust23THRUST_200600_302600_NS11hip_rocprim14__parallel_for6kernelILj256ENS1_10for_each_fINS0_7pointerINS0_5tupleIffNS0_9null_typeES7_S7_S7_S7_S7_S7_S7_EENS1_3tagENS0_11use_defaultESA_EENS0_6detail16wrapped_functionINSC_23allocator_traits_detail24construct1_via_allocatorINSC_18no_throw_allocatorINSC_19temporary_allocatorIS8_S9_EEEEEEvEEEEmLj1EEEvT0_T1_SO_,comdat
.Lfunc_end2:
	.size	_ZN6thrust23THRUST_200600_302600_NS11hip_rocprim14__parallel_for6kernelILj256ENS1_10for_each_fINS0_7pointerINS0_5tupleIffNS0_9null_typeES7_S7_S7_S7_S7_S7_S7_EENS1_3tagENS0_11use_defaultESA_EENS0_6detail16wrapped_functionINSC_23allocator_traits_detail24construct1_via_allocatorINSC_18no_throw_allocatorINSC_19temporary_allocatorIS8_S9_EEEEEEvEEEEmLj1EEEvT0_T1_SO_, .Lfunc_end2-_ZN6thrust23THRUST_200600_302600_NS11hip_rocprim14__parallel_for6kernelILj256ENS1_10for_each_fINS0_7pointerINS0_5tupleIffNS0_9null_typeES7_S7_S7_S7_S7_S7_S7_EENS1_3tagENS0_11use_defaultESA_EENS0_6detail16wrapped_functionINSC_23allocator_traits_detail24construct1_via_allocatorINSC_18no_throw_allocatorINSC_19temporary_allocatorIS8_S9_EEEEEEvEEEEmLj1EEEvT0_T1_SO_
                                        ; -- End function
	.section	.AMDGPU.csdata,"",@progbits
; Kernel info:
; codeLenInByte = 196
; NumSgprs: 18
; NumVgprs: 4
; NumAgprs: 0
; TotalNumVgprs: 4
; ScratchSize: 0
; MemoryBound: 0
; FloatMode: 240
; IeeeMode: 1
; LDSByteSize: 0 bytes/workgroup (compile time only)
; SGPRBlocks: 2
; VGPRBlocks: 0
; NumSGPRsForWavesPerEU: 18
; NumVGPRsForWavesPerEU: 4
; AccumOffset: 4
; Occupancy: 8
; WaveLimiterHint : 0
; COMPUTE_PGM_RSRC2:SCRATCH_EN: 0
; COMPUTE_PGM_RSRC2:USER_SGPR: 2
; COMPUTE_PGM_RSRC2:TRAP_HANDLER: 0
; COMPUTE_PGM_RSRC2:TGID_X_EN: 1
; COMPUTE_PGM_RSRC2:TGID_Y_EN: 0
; COMPUTE_PGM_RSRC2:TGID_Z_EN: 0
; COMPUTE_PGM_RSRC2:TIDIG_COMP_CNT: 0
; COMPUTE_PGM_RSRC3_GFX90A:ACCUM_OFFSET: 0
; COMPUTE_PGM_RSRC3_GFX90A:TG_SPLIT: 0
	.section	.text._ZN6thrust23THRUST_200600_302600_NS11hip_rocprim14__parallel_for6kernelILj256ENS1_10for_each_fINS0_7pointerINS0_5tupleIffNS0_9null_typeES7_S7_S7_S7_S7_S7_S7_EENS1_3tagENS0_11use_defaultESA_EENS0_6detail16wrapped_functionINSC_23allocator_traits_detail5gozerEvEEEElLj1EEEvT0_T1_SJ_,"axG",@progbits,_ZN6thrust23THRUST_200600_302600_NS11hip_rocprim14__parallel_for6kernelILj256ENS1_10for_each_fINS0_7pointerINS0_5tupleIffNS0_9null_typeES7_S7_S7_S7_S7_S7_S7_EENS1_3tagENS0_11use_defaultESA_EENS0_6detail16wrapped_functionINSC_23allocator_traits_detail5gozerEvEEEElLj1EEEvT0_T1_SJ_,comdat
	.protected	_ZN6thrust23THRUST_200600_302600_NS11hip_rocprim14__parallel_for6kernelILj256ENS1_10for_each_fINS0_7pointerINS0_5tupleIffNS0_9null_typeES7_S7_S7_S7_S7_S7_S7_EENS1_3tagENS0_11use_defaultESA_EENS0_6detail16wrapped_functionINSC_23allocator_traits_detail5gozerEvEEEElLj1EEEvT0_T1_SJ_ ; -- Begin function _ZN6thrust23THRUST_200600_302600_NS11hip_rocprim14__parallel_for6kernelILj256ENS1_10for_each_fINS0_7pointerINS0_5tupleIffNS0_9null_typeES7_S7_S7_S7_S7_S7_S7_EENS1_3tagENS0_11use_defaultESA_EENS0_6detail16wrapped_functionINSC_23allocator_traits_detail5gozerEvEEEElLj1EEEvT0_T1_SJ_
	.globl	_ZN6thrust23THRUST_200600_302600_NS11hip_rocprim14__parallel_for6kernelILj256ENS1_10for_each_fINS0_7pointerINS0_5tupleIffNS0_9null_typeES7_S7_S7_S7_S7_S7_S7_EENS1_3tagENS0_11use_defaultESA_EENS0_6detail16wrapped_functionINSC_23allocator_traits_detail5gozerEvEEEElLj1EEEvT0_T1_SJ_
	.p2align	8
	.type	_ZN6thrust23THRUST_200600_302600_NS11hip_rocprim14__parallel_for6kernelILj256ENS1_10for_each_fINS0_7pointerINS0_5tupleIffNS0_9null_typeES7_S7_S7_S7_S7_S7_S7_EENS1_3tagENS0_11use_defaultESA_EENS0_6detail16wrapped_functionINSC_23allocator_traits_detail5gozerEvEEEElLj1EEEvT0_T1_SJ_,@function
_ZN6thrust23THRUST_200600_302600_NS11hip_rocprim14__parallel_for6kernelILj256ENS1_10for_each_fINS0_7pointerINS0_5tupleIffNS0_9null_typeES7_S7_S7_S7_S7_S7_S7_EENS1_3tagENS0_11use_defaultESA_EENS0_6detail16wrapped_functionINSC_23allocator_traits_detail5gozerEvEEEElLj1EEEvT0_T1_SJ_: ; @_ZN6thrust23THRUST_200600_302600_NS11hip_rocprim14__parallel_for6kernelILj256ENS1_10for_each_fINS0_7pointerINS0_5tupleIffNS0_9null_typeES7_S7_S7_S7_S7_S7_S7_EENS1_3tagENS0_11use_defaultESA_EENS0_6detail16wrapped_functionINSC_23allocator_traits_detail5gozerEvEEEElLj1EEEvT0_T1_SJ_
; %bb.0:
	s_endpgm
	.section	.rodata,"a",@progbits
	.p2align	6, 0x0
	.amdhsa_kernel _ZN6thrust23THRUST_200600_302600_NS11hip_rocprim14__parallel_for6kernelILj256ENS1_10for_each_fINS0_7pointerINS0_5tupleIffNS0_9null_typeES7_S7_S7_S7_S7_S7_S7_EENS1_3tagENS0_11use_defaultESA_EENS0_6detail16wrapped_functionINSC_23allocator_traits_detail5gozerEvEEEElLj1EEEvT0_T1_SJ_
		.amdhsa_group_segment_fixed_size 0
		.amdhsa_private_segment_fixed_size 0
		.amdhsa_kernarg_size 32
		.amdhsa_user_sgpr_count 2
		.amdhsa_user_sgpr_dispatch_ptr 0
		.amdhsa_user_sgpr_queue_ptr 0
		.amdhsa_user_sgpr_kernarg_segment_ptr 1
		.amdhsa_user_sgpr_dispatch_id 0
		.amdhsa_user_sgpr_kernarg_preload_length 0
		.amdhsa_user_sgpr_kernarg_preload_offset 0
		.amdhsa_user_sgpr_private_segment_size 0
		.amdhsa_uses_dynamic_stack 0
		.amdhsa_enable_private_segment 0
		.amdhsa_system_sgpr_workgroup_id_x 1
		.amdhsa_system_sgpr_workgroup_id_y 0
		.amdhsa_system_sgpr_workgroup_id_z 0
		.amdhsa_system_sgpr_workgroup_info 0
		.amdhsa_system_vgpr_workitem_id 0
		.amdhsa_next_free_vgpr 1
		.amdhsa_next_free_sgpr 0
		.amdhsa_accum_offset 4
		.amdhsa_reserve_vcc 0
		.amdhsa_float_round_mode_32 0
		.amdhsa_float_round_mode_16_64 0
		.amdhsa_float_denorm_mode_32 3
		.amdhsa_float_denorm_mode_16_64 3
		.amdhsa_dx10_clamp 1
		.amdhsa_ieee_mode 1
		.amdhsa_fp16_overflow 0
		.amdhsa_tg_split 0
		.amdhsa_exception_fp_ieee_invalid_op 0
		.amdhsa_exception_fp_denorm_src 0
		.amdhsa_exception_fp_ieee_div_zero 0
		.amdhsa_exception_fp_ieee_overflow 0
		.amdhsa_exception_fp_ieee_underflow 0
		.amdhsa_exception_fp_ieee_inexact 0
		.amdhsa_exception_int_div_zero 0
	.end_amdhsa_kernel
	.section	.text._ZN6thrust23THRUST_200600_302600_NS11hip_rocprim14__parallel_for6kernelILj256ENS1_10for_each_fINS0_7pointerINS0_5tupleIffNS0_9null_typeES7_S7_S7_S7_S7_S7_S7_EENS1_3tagENS0_11use_defaultESA_EENS0_6detail16wrapped_functionINSC_23allocator_traits_detail5gozerEvEEEElLj1EEEvT0_T1_SJ_,"axG",@progbits,_ZN6thrust23THRUST_200600_302600_NS11hip_rocprim14__parallel_for6kernelILj256ENS1_10for_each_fINS0_7pointerINS0_5tupleIffNS0_9null_typeES7_S7_S7_S7_S7_S7_S7_EENS1_3tagENS0_11use_defaultESA_EENS0_6detail16wrapped_functionINSC_23allocator_traits_detail5gozerEvEEEElLj1EEEvT0_T1_SJ_,comdat
.Lfunc_end3:
	.size	_ZN6thrust23THRUST_200600_302600_NS11hip_rocprim14__parallel_for6kernelILj256ENS1_10for_each_fINS0_7pointerINS0_5tupleIffNS0_9null_typeES7_S7_S7_S7_S7_S7_S7_EENS1_3tagENS0_11use_defaultESA_EENS0_6detail16wrapped_functionINSC_23allocator_traits_detail5gozerEvEEEElLj1EEEvT0_T1_SJ_, .Lfunc_end3-_ZN6thrust23THRUST_200600_302600_NS11hip_rocprim14__parallel_for6kernelILj256ENS1_10for_each_fINS0_7pointerINS0_5tupleIffNS0_9null_typeES7_S7_S7_S7_S7_S7_S7_EENS1_3tagENS0_11use_defaultESA_EENS0_6detail16wrapped_functionINSC_23allocator_traits_detail5gozerEvEEEElLj1EEEvT0_T1_SJ_
                                        ; -- End function
	.section	.AMDGPU.csdata,"",@progbits
; Kernel info:
; codeLenInByte = 4
; NumSgprs: 6
; NumVgprs: 0
; NumAgprs: 0
; TotalNumVgprs: 0
; ScratchSize: 0
; MemoryBound: 0
; FloatMode: 240
; IeeeMode: 1
; LDSByteSize: 0 bytes/workgroup (compile time only)
; SGPRBlocks: 0
; VGPRBlocks: 0
; NumSGPRsForWavesPerEU: 6
; NumVGPRsForWavesPerEU: 1
; AccumOffset: 4
; Occupancy: 8
; WaveLimiterHint : 0
; COMPUTE_PGM_RSRC2:SCRATCH_EN: 0
; COMPUTE_PGM_RSRC2:USER_SGPR: 2
; COMPUTE_PGM_RSRC2:TRAP_HANDLER: 0
; COMPUTE_PGM_RSRC2:TGID_X_EN: 1
; COMPUTE_PGM_RSRC2:TGID_Y_EN: 0
; COMPUTE_PGM_RSRC2:TGID_Z_EN: 0
; COMPUTE_PGM_RSRC2:TIDIG_COMP_CNT: 0
; COMPUTE_PGM_RSRC3_GFX90A:ACCUM_OFFSET: 0
; COMPUTE_PGM_RSRC3_GFX90A:TG_SPLIT: 0
	.section	.text._ZN6thrust23THRUST_200600_302600_NS11hip_rocprim14__parallel_for6kernelILj256ENS1_11__transform17unary_transform_fINS0_7pointerINS0_5tupleIffNS0_9null_typeES8_S8_S8_S8_S8_S8_S8_EENS1_3tagENS0_11use_defaultESB_EENS0_10device_ptrIS9_EENS4_14no_stencil_tagENS0_8identityIS9_EENS4_21always_true_predicateEEElLj1EEEvT0_T1_SL_,"axG",@progbits,_ZN6thrust23THRUST_200600_302600_NS11hip_rocprim14__parallel_for6kernelILj256ENS1_11__transform17unary_transform_fINS0_7pointerINS0_5tupleIffNS0_9null_typeES8_S8_S8_S8_S8_S8_S8_EENS1_3tagENS0_11use_defaultESB_EENS0_10device_ptrIS9_EENS4_14no_stencil_tagENS0_8identityIS9_EENS4_21always_true_predicateEEElLj1EEEvT0_T1_SL_,comdat
	.protected	_ZN6thrust23THRUST_200600_302600_NS11hip_rocprim14__parallel_for6kernelILj256ENS1_11__transform17unary_transform_fINS0_7pointerINS0_5tupleIffNS0_9null_typeES8_S8_S8_S8_S8_S8_S8_EENS1_3tagENS0_11use_defaultESB_EENS0_10device_ptrIS9_EENS4_14no_stencil_tagENS0_8identityIS9_EENS4_21always_true_predicateEEElLj1EEEvT0_T1_SL_ ; -- Begin function _ZN6thrust23THRUST_200600_302600_NS11hip_rocprim14__parallel_for6kernelILj256ENS1_11__transform17unary_transform_fINS0_7pointerINS0_5tupleIffNS0_9null_typeES8_S8_S8_S8_S8_S8_S8_EENS1_3tagENS0_11use_defaultESB_EENS0_10device_ptrIS9_EENS4_14no_stencil_tagENS0_8identityIS9_EENS4_21always_true_predicateEEElLj1EEEvT0_T1_SL_
	.globl	_ZN6thrust23THRUST_200600_302600_NS11hip_rocprim14__parallel_for6kernelILj256ENS1_11__transform17unary_transform_fINS0_7pointerINS0_5tupleIffNS0_9null_typeES8_S8_S8_S8_S8_S8_S8_EENS1_3tagENS0_11use_defaultESB_EENS0_10device_ptrIS9_EENS4_14no_stencil_tagENS0_8identityIS9_EENS4_21always_true_predicateEEElLj1EEEvT0_T1_SL_
	.p2align	8
	.type	_ZN6thrust23THRUST_200600_302600_NS11hip_rocprim14__parallel_for6kernelILj256ENS1_11__transform17unary_transform_fINS0_7pointerINS0_5tupleIffNS0_9null_typeES8_S8_S8_S8_S8_S8_S8_EENS1_3tagENS0_11use_defaultESB_EENS0_10device_ptrIS9_EENS4_14no_stencil_tagENS0_8identityIS9_EENS4_21always_true_predicateEEElLj1EEEvT0_T1_SL_,@function
_ZN6thrust23THRUST_200600_302600_NS11hip_rocprim14__parallel_for6kernelILj256ENS1_11__transform17unary_transform_fINS0_7pointerINS0_5tupleIffNS0_9null_typeES8_S8_S8_S8_S8_S8_S8_EENS1_3tagENS0_11use_defaultESB_EENS0_10device_ptrIS9_EENS4_14no_stencil_tagENS0_8identityIS9_EENS4_21always_true_predicateEEElLj1EEEvT0_T1_SL_: ; @_ZN6thrust23THRUST_200600_302600_NS11hip_rocprim14__parallel_for6kernelILj256ENS1_11__transform17unary_transform_fINS0_7pointerINS0_5tupleIffNS0_9null_typeES8_S8_S8_S8_S8_S8_S8_EENS1_3tagENS0_11use_defaultESB_EENS0_10device_ptrIS9_EENS4_14no_stencil_tagENS0_8identityIS9_EENS4_21always_true_predicateEEElLj1EEEvT0_T1_SL_
; %bb.0:
	s_load_dwordx4 s[8:11], s[0:1], 0x18
	s_load_dwordx4 s[4:7], s[0:1], 0x0
	s_lshl_b32 s0, s2, 8
	v_mov_b64_e32 v[2:3], 0x100
	s_waitcnt lgkmcnt(0)
	s_add_u32 s0, s0, s10
	s_addc_u32 s1, 0, s11
	s_sub_u32 s2, s8, s0
	s_subb_u32 s3, s9, s1
	v_cmp_lt_i64_e32 vcc, s[2:3], v[2:3]
	s_and_b64 s[8:9], vcc, exec
	s_cselect_b32 s8, s2, 0x100
	s_cmpk_lg_i32 s8, 0x100
	s_mov_b64 s[2:3], -1
	s_cbranch_scc1 .LBB4_3
; %bb.1:
	s_andn2_b64 vcc, exec, s[2:3]
	s_cbranch_vccz .LBB4_6
.LBB4_2:
	s_endpgm
.LBB4_3:
	v_cmp_gt_u32_e32 vcc, s8, v0
	s_and_saveexec_b64 s[2:3], vcc
	s_cbranch_execz .LBB4_5
; %bb.4:
	v_mov_b32_e32 v1, 0
	v_lshl_add_u64 v[2:3], s[0:1], 0, v[0:1]
	v_lshlrev_b64 v[2:3], 3, v[2:3]
	v_lshl_add_u64 v[4:5], s[4:5], 0, v[2:3]
	flat_load_dwordx2 v[4:5], v[4:5]
	v_lshl_add_u64 v[2:3], s[6:7], 0, v[2:3]
	s_waitcnt vmcnt(0) lgkmcnt(0)
	flat_store_dwordx2 v[2:3], v[4:5]
.LBB4_5:
	s_or_b64 exec, exec, s[2:3]
	s_cbranch_execnz .LBB4_2
.LBB4_6:
	v_mov_b32_e32 v1, 0
	v_lshl_add_u64 v[0:1], s[0:1], 0, v[0:1]
	v_lshlrev_b64 v[0:1], 3, v[0:1]
	v_lshl_add_u64 v[2:3], s[4:5], 0, v[0:1]
	flat_load_dwordx2 v[2:3], v[2:3]
	v_lshl_add_u64 v[0:1], s[6:7], 0, v[0:1]
	s_waitcnt vmcnt(0) lgkmcnt(0)
	flat_store_dwordx2 v[0:1], v[2:3]
	s_endpgm
	.section	.rodata,"a",@progbits
	.p2align	6, 0x0
	.amdhsa_kernel _ZN6thrust23THRUST_200600_302600_NS11hip_rocprim14__parallel_for6kernelILj256ENS1_11__transform17unary_transform_fINS0_7pointerINS0_5tupleIffNS0_9null_typeES8_S8_S8_S8_S8_S8_S8_EENS1_3tagENS0_11use_defaultESB_EENS0_10device_ptrIS9_EENS4_14no_stencil_tagENS0_8identityIS9_EENS4_21always_true_predicateEEElLj1EEEvT0_T1_SL_
		.amdhsa_group_segment_fixed_size 0
		.amdhsa_private_segment_fixed_size 0
		.amdhsa_kernarg_size 40
		.amdhsa_user_sgpr_count 2
		.amdhsa_user_sgpr_dispatch_ptr 0
		.amdhsa_user_sgpr_queue_ptr 0
		.amdhsa_user_sgpr_kernarg_segment_ptr 1
		.amdhsa_user_sgpr_dispatch_id 0
		.amdhsa_user_sgpr_kernarg_preload_length 0
		.amdhsa_user_sgpr_kernarg_preload_offset 0
		.amdhsa_user_sgpr_private_segment_size 0
		.amdhsa_uses_dynamic_stack 0
		.amdhsa_enable_private_segment 0
		.amdhsa_system_sgpr_workgroup_id_x 1
		.amdhsa_system_sgpr_workgroup_id_y 0
		.amdhsa_system_sgpr_workgroup_id_z 0
		.amdhsa_system_sgpr_workgroup_info 0
		.amdhsa_system_vgpr_workitem_id 0
		.amdhsa_next_free_vgpr 6
		.amdhsa_next_free_sgpr 12
		.amdhsa_accum_offset 8
		.amdhsa_reserve_vcc 1
		.amdhsa_float_round_mode_32 0
		.amdhsa_float_round_mode_16_64 0
		.amdhsa_float_denorm_mode_32 3
		.amdhsa_float_denorm_mode_16_64 3
		.amdhsa_dx10_clamp 1
		.amdhsa_ieee_mode 1
		.amdhsa_fp16_overflow 0
		.amdhsa_tg_split 0
		.amdhsa_exception_fp_ieee_invalid_op 0
		.amdhsa_exception_fp_denorm_src 0
		.amdhsa_exception_fp_ieee_div_zero 0
		.amdhsa_exception_fp_ieee_overflow 0
		.amdhsa_exception_fp_ieee_underflow 0
		.amdhsa_exception_fp_ieee_inexact 0
		.amdhsa_exception_int_div_zero 0
	.end_amdhsa_kernel
	.section	.text._ZN6thrust23THRUST_200600_302600_NS11hip_rocprim14__parallel_for6kernelILj256ENS1_11__transform17unary_transform_fINS0_7pointerINS0_5tupleIffNS0_9null_typeES8_S8_S8_S8_S8_S8_S8_EENS1_3tagENS0_11use_defaultESB_EENS0_10device_ptrIS9_EENS4_14no_stencil_tagENS0_8identityIS9_EENS4_21always_true_predicateEEElLj1EEEvT0_T1_SL_,"axG",@progbits,_ZN6thrust23THRUST_200600_302600_NS11hip_rocprim14__parallel_for6kernelILj256ENS1_11__transform17unary_transform_fINS0_7pointerINS0_5tupleIffNS0_9null_typeES8_S8_S8_S8_S8_S8_S8_EENS1_3tagENS0_11use_defaultESB_EENS0_10device_ptrIS9_EENS4_14no_stencil_tagENS0_8identityIS9_EENS4_21always_true_predicateEEElLj1EEEvT0_T1_SL_,comdat
.Lfunc_end4:
	.size	_ZN6thrust23THRUST_200600_302600_NS11hip_rocprim14__parallel_for6kernelILj256ENS1_11__transform17unary_transform_fINS0_7pointerINS0_5tupleIffNS0_9null_typeES8_S8_S8_S8_S8_S8_S8_EENS1_3tagENS0_11use_defaultESB_EENS0_10device_ptrIS9_EENS4_14no_stencil_tagENS0_8identityIS9_EENS4_21always_true_predicateEEElLj1EEEvT0_T1_SL_, .Lfunc_end4-_ZN6thrust23THRUST_200600_302600_NS11hip_rocprim14__parallel_for6kernelILj256ENS1_11__transform17unary_transform_fINS0_7pointerINS0_5tupleIffNS0_9null_typeES8_S8_S8_S8_S8_S8_S8_EENS1_3tagENS0_11use_defaultESB_EENS0_10device_ptrIS9_EENS4_14no_stencil_tagENS0_8identityIS9_EENS4_21always_true_predicateEEElLj1EEEvT0_T1_SL_
                                        ; -- End function
	.section	.AMDGPU.csdata,"",@progbits
; Kernel info:
; codeLenInByte = 224
; NumSgprs: 18
; NumVgprs: 6
; NumAgprs: 0
; TotalNumVgprs: 6
; ScratchSize: 0
; MemoryBound: 0
; FloatMode: 240
; IeeeMode: 1
; LDSByteSize: 0 bytes/workgroup (compile time only)
; SGPRBlocks: 2
; VGPRBlocks: 0
; NumSGPRsForWavesPerEU: 18
; NumVGPRsForWavesPerEU: 6
; AccumOffset: 8
; Occupancy: 8
; WaveLimiterHint : 0
; COMPUTE_PGM_RSRC2:SCRATCH_EN: 0
; COMPUTE_PGM_RSRC2:USER_SGPR: 2
; COMPUTE_PGM_RSRC2:TRAP_HANDLER: 0
; COMPUTE_PGM_RSRC2:TGID_X_EN: 1
; COMPUTE_PGM_RSRC2:TGID_Y_EN: 0
; COMPUTE_PGM_RSRC2:TGID_Z_EN: 0
; COMPUTE_PGM_RSRC2:TIDIG_COMP_CNT: 0
; COMPUTE_PGM_RSRC3_GFX90A:ACCUM_OFFSET: 1
; COMPUTE_PGM_RSRC3_GFX90A:TG_SPLIT: 0
	.section	.text._ZN6thrust23THRUST_200600_302600_NS11hip_rocprim14__parallel_for6kernelILj256ENS1_20__uninitialized_copy7functorINS0_7pointerINS0_5tupleIffNS0_9null_typeES8_S8_S8_S8_S8_S8_S8_EENS1_3tagENS0_11use_defaultESB_EESC_EEmLj1EEEvT0_T1_SF_,"axG",@progbits,_ZN6thrust23THRUST_200600_302600_NS11hip_rocprim14__parallel_for6kernelILj256ENS1_20__uninitialized_copy7functorINS0_7pointerINS0_5tupleIffNS0_9null_typeES8_S8_S8_S8_S8_S8_S8_EENS1_3tagENS0_11use_defaultESB_EESC_EEmLj1EEEvT0_T1_SF_,comdat
	.protected	_ZN6thrust23THRUST_200600_302600_NS11hip_rocprim14__parallel_for6kernelILj256ENS1_20__uninitialized_copy7functorINS0_7pointerINS0_5tupleIffNS0_9null_typeES8_S8_S8_S8_S8_S8_S8_EENS1_3tagENS0_11use_defaultESB_EESC_EEmLj1EEEvT0_T1_SF_ ; -- Begin function _ZN6thrust23THRUST_200600_302600_NS11hip_rocprim14__parallel_for6kernelILj256ENS1_20__uninitialized_copy7functorINS0_7pointerINS0_5tupleIffNS0_9null_typeES8_S8_S8_S8_S8_S8_S8_EENS1_3tagENS0_11use_defaultESB_EESC_EEmLj1EEEvT0_T1_SF_
	.globl	_ZN6thrust23THRUST_200600_302600_NS11hip_rocprim14__parallel_for6kernelILj256ENS1_20__uninitialized_copy7functorINS0_7pointerINS0_5tupleIffNS0_9null_typeES8_S8_S8_S8_S8_S8_S8_EENS1_3tagENS0_11use_defaultESB_EESC_EEmLj1EEEvT0_T1_SF_
	.p2align	8
	.type	_ZN6thrust23THRUST_200600_302600_NS11hip_rocprim14__parallel_for6kernelILj256ENS1_20__uninitialized_copy7functorINS0_7pointerINS0_5tupleIffNS0_9null_typeES8_S8_S8_S8_S8_S8_S8_EENS1_3tagENS0_11use_defaultESB_EESC_EEmLj1EEEvT0_T1_SF_,@function
_ZN6thrust23THRUST_200600_302600_NS11hip_rocprim14__parallel_for6kernelILj256ENS1_20__uninitialized_copy7functorINS0_7pointerINS0_5tupleIffNS0_9null_typeES8_S8_S8_S8_S8_S8_S8_EENS1_3tagENS0_11use_defaultESB_EESC_EEmLj1EEEvT0_T1_SF_: ; @_ZN6thrust23THRUST_200600_302600_NS11hip_rocprim14__parallel_for6kernelILj256ENS1_20__uninitialized_copy7functorINS0_7pointerINS0_5tupleIffNS0_9null_typeES8_S8_S8_S8_S8_S8_S8_EENS1_3tagENS0_11use_defaultESB_EESC_EEmLj1EEEvT0_T1_SF_
; %bb.0:
	s_load_dwordx8 s[4:11], s[0:1], 0x0
	s_lshl_b32 s0, s2, 8
	v_mov_b64_e32 v[2:3], 0x100
	s_waitcnt lgkmcnt(0)
	s_add_u32 s0, s0, s10
	s_addc_u32 s1, 0, s11
	s_sub_u32 s2, s8, s0
	s_subb_u32 s3, s9, s1
	v_cmp_lt_u64_e32 vcc, s[2:3], v[2:3]
	s_cbranch_vccz .LBB5_4
; %bb.1:
	v_cmp_gt_u32_e32 vcc, s2, v0
	s_mov_b64 s[8:9], 0
	s_mov_b64 s[2:3], 0
                                        ; implicit-def: $vgpr2_vgpr3
                                        ; implicit-def: $vgpr4_vgpr5
	s_and_saveexec_b64 s[10:11], vcc
	s_xor_b64 s[10:11], exec, s[10:11]
; %bb.2:
	v_mov_b32_e32 v1, 0
	v_lshl_add_u64 v[2:3], s[0:1], 0, v[0:1]
	v_lshlrev_b64 v[4:5], 3, v[2:3]
	s_mov_b64 s[2:3], exec
	v_lshl_add_u64 v[2:3], s[6:7], 0, v[4:5]
	v_lshl_add_u64 v[4:5], s[4:5], 0, v[4:5]
; %bb.3:
	s_or_b64 exec, exec, s[10:11]
	s_and_b64 vcc, exec, s[8:9]
	s_cbranch_vccnz .LBB5_5
	s_branch .LBB5_6
.LBB5_4:
	s_mov_b64 s[2:3], 0
                                        ; implicit-def: $vgpr2_vgpr3
                                        ; implicit-def: $vgpr4_vgpr5
	s_cbranch_execz .LBB5_6
.LBB5_5:
	v_mov_b32_e32 v1, 0
	v_lshl_add_u64 v[0:1], s[0:1], 0, v[0:1]
	v_lshlrev_b64 v[0:1], 3, v[0:1]
	v_lshl_add_u64 v[4:5], s[4:5], 0, v[0:1]
	v_lshl_add_u64 v[2:3], s[6:7], 0, v[0:1]
	s_or_b64 s[2:3], s[2:3], exec
.LBB5_6:
	s_and_saveexec_b64 s[0:1], s[2:3]
	s_cbranch_execnz .LBB5_8
; %bb.7:
	s_endpgm
.LBB5_8:
	flat_load_dwordx2 v[0:1], v[4:5]
	s_waitcnt vmcnt(0) lgkmcnt(0)
	flat_store_dwordx2 v[2:3], v[0:1]
	s_endpgm
	.section	.rodata,"a",@progbits
	.p2align	6, 0x0
	.amdhsa_kernel _ZN6thrust23THRUST_200600_302600_NS11hip_rocprim14__parallel_for6kernelILj256ENS1_20__uninitialized_copy7functorINS0_7pointerINS0_5tupleIffNS0_9null_typeES8_S8_S8_S8_S8_S8_S8_EENS1_3tagENS0_11use_defaultESB_EESC_EEmLj1EEEvT0_T1_SF_
		.amdhsa_group_segment_fixed_size 0
		.amdhsa_private_segment_fixed_size 0
		.amdhsa_kernarg_size 32
		.amdhsa_user_sgpr_count 2
		.amdhsa_user_sgpr_dispatch_ptr 0
		.amdhsa_user_sgpr_queue_ptr 0
		.amdhsa_user_sgpr_kernarg_segment_ptr 1
		.amdhsa_user_sgpr_dispatch_id 0
		.amdhsa_user_sgpr_kernarg_preload_length 0
		.amdhsa_user_sgpr_kernarg_preload_offset 0
		.amdhsa_user_sgpr_private_segment_size 0
		.amdhsa_uses_dynamic_stack 0
		.amdhsa_enable_private_segment 0
		.amdhsa_system_sgpr_workgroup_id_x 1
		.amdhsa_system_sgpr_workgroup_id_y 0
		.amdhsa_system_sgpr_workgroup_id_z 0
		.amdhsa_system_sgpr_workgroup_info 0
		.amdhsa_system_vgpr_workitem_id 0
		.amdhsa_next_free_vgpr 6
		.amdhsa_next_free_sgpr 12
		.amdhsa_accum_offset 8
		.amdhsa_reserve_vcc 1
		.amdhsa_float_round_mode_32 0
		.amdhsa_float_round_mode_16_64 0
		.amdhsa_float_denorm_mode_32 3
		.amdhsa_float_denorm_mode_16_64 3
		.amdhsa_dx10_clamp 1
		.amdhsa_ieee_mode 1
		.amdhsa_fp16_overflow 0
		.amdhsa_tg_split 0
		.amdhsa_exception_fp_ieee_invalid_op 0
		.amdhsa_exception_fp_denorm_src 0
		.amdhsa_exception_fp_ieee_div_zero 0
		.amdhsa_exception_fp_ieee_overflow 0
		.amdhsa_exception_fp_ieee_underflow 0
		.amdhsa_exception_fp_ieee_inexact 0
		.amdhsa_exception_int_div_zero 0
	.end_amdhsa_kernel
	.section	.text._ZN6thrust23THRUST_200600_302600_NS11hip_rocprim14__parallel_for6kernelILj256ENS1_20__uninitialized_copy7functorINS0_7pointerINS0_5tupleIffNS0_9null_typeES8_S8_S8_S8_S8_S8_S8_EENS1_3tagENS0_11use_defaultESB_EESC_EEmLj1EEEvT0_T1_SF_,"axG",@progbits,_ZN6thrust23THRUST_200600_302600_NS11hip_rocprim14__parallel_for6kernelILj256ENS1_20__uninitialized_copy7functorINS0_7pointerINS0_5tupleIffNS0_9null_typeES8_S8_S8_S8_S8_S8_S8_EENS1_3tagENS0_11use_defaultESB_EESC_EEmLj1EEEvT0_T1_SF_,comdat
.Lfunc_end5:
	.size	_ZN6thrust23THRUST_200600_302600_NS11hip_rocprim14__parallel_for6kernelILj256ENS1_20__uninitialized_copy7functorINS0_7pointerINS0_5tupleIffNS0_9null_typeES8_S8_S8_S8_S8_S8_S8_EENS1_3tagENS0_11use_defaultESB_EESC_EEmLj1EEEvT0_T1_SF_, .Lfunc_end5-_ZN6thrust23THRUST_200600_302600_NS11hip_rocprim14__parallel_for6kernelILj256ENS1_20__uninitialized_copy7functorINS0_7pointerINS0_5tupleIffNS0_9null_typeES8_S8_S8_S8_S8_S8_S8_EENS1_3tagENS0_11use_defaultESB_EESC_EEmLj1EEEvT0_T1_SF_
                                        ; -- End function
	.section	.AMDGPU.csdata,"",@progbits
; Kernel info:
; codeLenInByte = 208
; NumSgprs: 18
; NumVgprs: 6
; NumAgprs: 0
; TotalNumVgprs: 6
; ScratchSize: 0
; MemoryBound: 1
; FloatMode: 240
; IeeeMode: 1
; LDSByteSize: 0 bytes/workgroup (compile time only)
; SGPRBlocks: 2
; VGPRBlocks: 0
; NumSGPRsForWavesPerEU: 18
; NumVGPRsForWavesPerEU: 6
; AccumOffset: 8
; Occupancy: 8
; WaveLimiterHint : 0
; COMPUTE_PGM_RSRC2:SCRATCH_EN: 0
; COMPUTE_PGM_RSRC2:USER_SGPR: 2
; COMPUTE_PGM_RSRC2:TRAP_HANDLER: 0
; COMPUTE_PGM_RSRC2:TGID_X_EN: 1
; COMPUTE_PGM_RSRC2:TGID_Y_EN: 0
; COMPUTE_PGM_RSRC2:TGID_Z_EN: 0
; COMPUTE_PGM_RSRC2:TIDIG_COMP_CNT: 0
; COMPUTE_PGM_RSRC3_GFX90A:ACCUM_OFFSET: 1
; COMPUTE_PGM_RSRC3_GFX90A:TG_SPLIT: 0
	.section	.text._ZN6thrust23THRUST_200600_302600_NS11hip_rocprim14__parallel_for6kernelILj256ENS1_10for_each_fINS0_12zip_iteratorINS0_5tupleINS0_6detail15normal_iteratorINS0_10device_ptrIKNS6_IffNS0_9null_typeESA_SA_SA_SA_SA_SA_SA_EEEEEENS9_ISB_EESA_SA_SA_SA_SA_SA_SA_SA_EEEENS7_16wrapped_functionINS7_23allocator_traits_detail29copy_construct_with_allocatorINS0_16device_allocatorISB_EESB_SB_EEvEEEElLj1EEEvT0_T1_SR_,"axG",@progbits,_ZN6thrust23THRUST_200600_302600_NS11hip_rocprim14__parallel_for6kernelILj256ENS1_10for_each_fINS0_12zip_iteratorINS0_5tupleINS0_6detail15normal_iteratorINS0_10device_ptrIKNS6_IffNS0_9null_typeESA_SA_SA_SA_SA_SA_SA_EEEEEENS9_ISB_EESA_SA_SA_SA_SA_SA_SA_SA_EEEENS7_16wrapped_functionINS7_23allocator_traits_detail29copy_construct_with_allocatorINS0_16device_allocatorISB_EESB_SB_EEvEEEElLj1EEEvT0_T1_SR_,comdat
	.protected	_ZN6thrust23THRUST_200600_302600_NS11hip_rocprim14__parallel_for6kernelILj256ENS1_10for_each_fINS0_12zip_iteratorINS0_5tupleINS0_6detail15normal_iteratorINS0_10device_ptrIKNS6_IffNS0_9null_typeESA_SA_SA_SA_SA_SA_SA_EEEEEENS9_ISB_EESA_SA_SA_SA_SA_SA_SA_SA_EEEENS7_16wrapped_functionINS7_23allocator_traits_detail29copy_construct_with_allocatorINS0_16device_allocatorISB_EESB_SB_EEvEEEElLj1EEEvT0_T1_SR_ ; -- Begin function _ZN6thrust23THRUST_200600_302600_NS11hip_rocprim14__parallel_for6kernelILj256ENS1_10for_each_fINS0_12zip_iteratorINS0_5tupleINS0_6detail15normal_iteratorINS0_10device_ptrIKNS6_IffNS0_9null_typeESA_SA_SA_SA_SA_SA_SA_EEEEEENS9_ISB_EESA_SA_SA_SA_SA_SA_SA_SA_EEEENS7_16wrapped_functionINS7_23allocator_traits_detail29copy_construct_with_allocatorINS0_16device_allocatorISB_EESB_SB_EEvEEEElLj1EEEvT0_T1_SR_
	.globl	_ZN6thrust23THRUST_200600_302600_NS11hip_rocprim14__parallel_for6kernelILj256ENS1_10for_each_fINS0_12zip_iteratorINS0_5tupleINS0_6detail15normal_iteratorINS0_10device_ptrIKNS6_IffNS0_9null_typeESA_SA_SA_SA_SA_SA_SA_EEEEEENS9_ISB_EESA_SA_SA_SA_SA_SA_SA_SA_EEEENS7_16wrapped_functionINS7_23allocator_traits_detail29copy_construct_with_allocatorINS0_16device_allocatorISB_EESB_SB_EEvEEEElLj1EEEvT0_T1_SR_
	.p2align	8
	.type	_ZN6thrust23THRUST_200600_302600_NS11hip_rocprim14__parallel_for6kernelILj256ENS1_10for_each_fINS0_12zip_iteratorINS0_5tupleINS0_6detail15normal_iteratorINS0_10device_ptrIKNS6_IffNS0_9null_typeESA_SA_SA_SA_SA_SA_SA_EEEEEENS9_ISB_EESA_SA_SA_SA_SA_SA_SA_SA_EEEENS7_16wrapped_functionINS7_23allocator_traits_detail29copy_construct_with_allocatorINS0_16device_allocatorISB_EESB_SB_EEvEEEElLj1EEEvT0_T1_SR_,@function
_ZN6thrust23THRUST_200600_302600_NS11hip_rocprim14__parallel_for6kernelILj256ENS1_10for_each_fINS0_12zip_iteratorINS0_5tupleINS0_6detail15normal_iteratorINS0_10device_ptrIKNS6_IffNS0_9null_typeESA_SA_SA_SA_SA_SA_SA_EEEEEENS9_ISB_EESA_SA_SA_SA_SA_SA_SA_SA_EEEENS7_16wrapped_functionINS7_23allocator_traits_detail29copy_construct_with_allocatorINS0_16device_allocatorISB_EESB_SB_EEvEEEElLj1EEEvT0_T1_SR_: ; @_ZN6thrust23THRUST_200600_302600_NS11hip_rocprim14__parallel_for6kernelILj256ENS1_10for_each_fINS0_12zip_iteratorINS0_5tupleINS0_6detail15normal_iteratorINS0_10device_ptrIKNS6_IffNS0_9null_typeESA_SA_SA_SA_SA_SA_SA_EEEEEENS9_ISB_EESA_SA_SA_SA_SA_SA_SA_SA_EEEENS7_16wrapped_functionINS7_23allocator_traits_detail29copy_construct_with_allocatorINS0_16device_allocatorISB_EESB_SB_EEvEEEElLj1EEEvT0_T1_SR_
; %bb.0:
	s_load_dwordx4 s[4:7], s[0:1], 0x18
	s_lshl_b32 s2, s2, 8
	v_mov_b64_e32 v[2:3], 0x100
	s_waitcnt lgkmcnt(0)
	s_add_u32 s2, s2, s6
	s_addc_u32 s3, 0, s7
	s_sub_u32 s4, s4, s2
	s_subb_u32 s5, s5, s3
	v_cmp_lt_i64_e32 vcc, s[4:5], v[2:3]
	s_and_b64 s[6:7], vcc, exec
	s_cselect_b32 s6, s4, 0x100
	s_cmpk_eq_i32 s6, 0x100
	s_cselect_b64 s[4:5], -1, 0
	v_cmp_gt_u32_e32 vcc, s6, v0
	s_or_b64 s[4:5], s[4:5], vcc
	s_and_saveexec_b64 s[6:7], s[4:5]
	s_cbranch_execz .LBB6_2
; %bb.1:
	s_load_dwordx4 s[4:7], s[0:1], 0x0
	v_mov_b32_e32 v1, 0
	v_lshl_add_u64 v[0:1], s[2:3], 0, v[0:1]
	v_lshlrev_b64 v[0:1], 3, v[0:1]
	s_waitcnt lgkmcnt(0)
	v_lshl_add_u64 v[2:3], s[4:5], 0, v[0:1]
	global_load_dwordx2 v[2:3], v[2:3], off
	v_lshl_add_u64 v[0:1], s[6:7], 0, v[0:1]
	s_waitcnt vmcnt(0)
	global_store_dwordx2 v[0:1], v[2:3], off
.LBB6_2:
	s_endpgm
	.section	.rodata,"a",@progbits
	.p2align	6, 0x0
	.amdhsa_kernel _ZN6thrust23THRUST_200600_302600_NS11hip_rocprim14__parallel_for6kernelILj256ENS1_10for_each_fINS0_12zip_iteratorINS0_5tupleINS0_6detail15normal_iteratorINS0_10device_ptrIKNS6_IffNS0_9null_typeESA_SA_SA_SA_SA_SA_SA_EEEEEENS9_ISB_EESA_SA_SA_SA_SA_SA_SA_SA_EEEENS7_16wrapped_functionINS7_23allocator_traits_detail29copy_construct_with_allocatorINS0_16device_allocatorISB_EESB_SB_EEvEEEElLj1EEEvT0_T1_SR_
		.amdhsa_group_segment_fixed_size 0
		.amdhsa_private_segment_fixed_size 0
		.amdhsa_kernarg_size 40
		.amdhsa_user_sgpr_count 2
		.amdhsa_user_sgpr_dispatch_ptr 0
		.amdhsa_user_sgpr_queue_ptr 0
		.amdhsa_user_sgpr_kernarg_segment_ptr 1
		.amdhsa_user_sgpr_dispatch_id 0
		.amdhsa_user_sgpr_kernarg_preload_length 0
		.amdhsa_user_sgpr_kernarg_preload_offset 0
		.amdhsa_user_sgpr_private_segment_size 0
		.amdhsa_uses_dynamic_stack 0
		.amdhsa_enable_private_segment 0
		.amdhsa_system_sgpr_workgroup_id_x 1
		.amdhsa_system_sgpr_workgroup_id_y 0
		.amdhsa_system_sgpr_workgroup_id_z 0
		.amdhsa_system_sgpr_workgroup_info 0
		.amdhsa_system_vgpr_workitem_id 0
		.amdhsa_next_free_vgpr 4
		.amdhsa_next_free_sgpr 8
		.amdhsa_accum_offset 4
		.amdhsa_reserve_vcc 1
		.amdhsa_float_round_mode_32 0
		.amdhsa_float_round_mode_16_64 0
		.amdhsa_float_denorm_mode_32 3
		.amdhsa_float_denorm_mode_16_64 3
		.amdhsa_dx10_clamp 1
		.amdhsa_ieee_mode 1
		.amdhsa_fp16_overflow 0
		.amdhsa_tg_split 0
		.amdhsa_exception_fp_ieee_invalid_op 0
		.amdhsa_exception_fp_denorm_src 0
		.amdhsa_exception_fp_ieee_div_zero 0
		.amdhsa_exception_fp_ieee_overflow 0
		.amdhsa_exception_fp_ieee_underflow 0
		.amdhsa_exception_fp_ieee_inexact 0
		.amdhsa_exception_int_div_zero 0
	.end_amdhsa_kernel
	.section	.text._ZN6thrust23THRUST_200600_302600_NS11hip_rocprim14__parallel_for6kernelILj256ENS1_10for_each_fINS0_12zip_iteratorINS0_5tupleINS0_6detail15normal_iteratorINS0_10device_ptrIKNS6_IffNS0_9null_typeESA_SA_SA_SA_SA_SA_SA_EEEEEENS9_ISB_EESA_SA_SA_SA_SA_SA_SA_SA_EEEENS7_16wrapped_functionINS7_23allocator_traits_detail29copy_construct_with_allocatorINS0_16device_allocatorISB_EESB_SB_EEvEEEElLj1EEEvT0_T1_SR_,"axG",@progbits,_ZN6thrust23THRUST_200600_302600_NS11hip_rocprim14__parallel_for6kernelILj256ENS1_10for_each_fINS0_12zip_iteratorINS0_5tupleINS0_6detail15normal_iteratorINS0_10device_ptrIKNS6_IffNS0_9null_typeESA_SA_SA_SA_SA_SA_SA_EEEEEENS9_ISB_EESA_SA_SA_SA_SA_SA_SA_SA_EEEENS7_16wrapped_functionINS7_23allocator_traits_detail29copy_construct_with_allocatorINS0_16device_allocatorISB_EESB_SB_EEvEEEElLj1EEEvT0_T1_SR_,comdat
.Lfunc_end6:
	.size	_ZN6thrust23THRUST_200600_302600_NS11hip_rocprim14__parallel_for6kernelILj256ENS1_10for_each_fINS0_12zip_iteratorINS0_5tupleINS0_6detail15normal_iteratorINS0_10device_ptrIKNS6_IffNS0_9null_typeESA_SA_SA_SA_SA_SA_SA_EEEEEENS9_ISB_EESA_SA_SA_SA_SA_SA_SA_SA_EEEENS7_16wrapped_functionINS7_23allocator_traits_detail29copy_construct_with_allocatorINS0_16device_allocatorISB_EESB_SB_EEvEEEElLj1EEEvT0_T1_SR_, .Lfunc_end6-_ZN6thrust23THRUST_200600_302600_NS11hip_rocprim14__parallel_for6kernelILj256ENS1_10for_each_fINS0_12zip_iteratorINS0_5tupleINS0_6detail15normal_iteratorINS0_10device_ptrIKNS6_IffNS0_9null_typeESA_SA_SA_SA_SA_SA_SA_EEEEEENS9_ISB_EESA_SA_SA_SA_SA_SA_SA_SA_EEEENS7_16wrapped_functionINS7_23allocator_traits_detail29copy_construct_with_allocatorINS0_16device_allocatorISB_EESB_SB_EEvEEEElLj1EEEvT0_T1_SR_
                                        ; -- End function
	.section	.AMDGPU.csdata,"",@progbits
; Kernel info:
; codeLenInByte = 152
; NumSgprs: 14
; NumVgprs: 4
; NumAgprs: 0
; TotalNumVgprs: 4
; ScratchSize: 0
; MemoryBound: 0
; FloatMode: 240
; IeeeMode: 1
; LDSByteSize: 0 bytes/workgroup (compile time only)
; SGPRBlocks: 1
; VGPRBlocks: 0
; NumSGPRsForWavesPerEU: 14
; NumVGPRsForWavesPerEU: 4
; AccumOffset: 4
; Occupancy: 8
; WaveLimiterHint : 0
; COMPUTE_PGM_RSRC2:SCRATCH_EN: 0
; COMPUTE_PGM_RSRC2:USER_SGPR: 2
; COMPUTE_PGM_RSRC2:TRAP_HANDLER: 0
; COMPUTE_PGM_RSRC2:TGID_X_EN: 1
; COMPUTE_PGM_RSRC2:TGID_Y_EN: 0
; COMPUTE_PGM_RSRC2:TGID_Z_EN: 0
; COMPUTE_PGM_RSRC2:TIDIG_COMP_CNT: 0
; COMPUTE_PGM_RSRC3_GFX90A:ACCUM_OFFSET: 0
; COMPUTE_PGM_RSRC3_GFX90A:TG_SPLIT: 0
	.section	.text._ZN6thrust23THRUST_200600_302600_NS11hip_rocprim14__parallel_for6kernelILj256ENS1_20__uninitialized_fill7functorINS0_10device_ptrIjEEjEEmLj1EEEvT0_T1_SA_,"axG",@progbits,_ZN6thrust23THRUST_200600_302600_NS11hip_rocprim14__parallel_for6kernelILj256ENS1_20__uninitialized_fill7functorINS0_10device_ptrIjEEjEEmLj1EEEvT0_T1_SA_,comdat
	.protected	_ZN6thrust23THRUST_200600_302600_NS11hip_rocprim14__parallel_for6kernelILj256ENS1_20__uninitialized_fill7functorINS0_10device_ptrIjEEjEEmLj1EEEvT0_T1_SA_ ; -- Begin function _ZN6thrust23THRUST_200600_302600_NS11hip_rocprim14__parallel_for6kernelILj256ENS1_20__uninitialized_fill7functorINS0_10device_ptrIjEEjEEmLj1EEEvT0_T1_SA_
	.globl	_ZN6thrust23THRUST_200600_302600_NS11hip_rocprim14__parallel_for6kernelILj256ENS1_20__uninitialized_fill7functorINS0_10device_ptrIjEEjEEmLj1EEEvT0_T1_SA_
	.p2align	8
	.type	_ZN6thrust23THRUST_200600_302600_NS11hip_rocprim14__parallel_for6kernelILj256ENS1_20__uninitialized_fill7functorINS0_10device_ptrIjEEjEEmLj1EEEvT0_T1_SA_,@function
_ZN6thrust23THRUST_200600_302600_NS11hip_rocprim14__parallel_for6kernelILj256ENS1_20__uninitialized_fill7functorINS0_10device_ptrIjEEjEEmLj1EEEvT0_T1_SA_: ; @_ZN6thrust23THRUST_200600_302600_NS11hip_rocprim14__parallel_for6kernelILj256ENS1_20__uninitialized_fill7functorINS0_10device_ptrIjEEjEEmLj1EEEvT0_T1_SA_
; %bb.0:
	s_load_dwordx4 s[4:7], s[0:1], 0x10
	s_lshl_b32 s2, s2, 8
	v_mov_b64_e32 v[2:3], 0x100
	s_waitcnt lgkmcnt(0)
	s_add_u32 s2, s2, s6
	s_addc_u32 s3, 0, s7
	s_sub_u32 s4, s4, s2
	s_subb_u32 s5, s5, s3
	v_cmp_lt_u64_e32 vcc, s[4:5], v[2:3]
	s_cbranch_vccz .LBB7_2
; %bb.1:
	v_cmp_gt_u32_e32 vcc, s4, v0
	s_and_b64 s[4:5], vcc, exec
	s_cbranch_execz .LBB7_3
	s_branch .LBB7_4
.LBB7_2:
	s_mov_b64 s[4:5], 0
.LBB7_3:
	s_or_b64 s[4:5], s[4:5], exec
.LBB7_4:
	s_and_saveexec_b64 s[6:7], s[4:5]
	s_cbranch_execnz .LBB7_6
; %bb.5:
	s_endpgm
.LBB7_6:
	s_load_dwordx2 s[4:5], s[0:1], 0x0
	s_load_dword s6, s[0:1], 0x8
	s_lshl_b64 s[0:1], s[2:3], 2
	v_mov_b32_e32 v1, 0
	s_waitcnt lgkmcnt(0)
	s_add_u32 s0, s4, s0
	s_addc_u32 s1, s5, s1
	v_lshl_add_u64 v[0:1], v[0:1], 2, s[0:1]
	v_mov_b32_e32 v2, s6
	flat_store_dword v[0:1], v2
	s_endpgm
	.section	.rodata,"a",@progbits
	.p2align	6, 0x0
	.amdhsa_kernel _ZN6thrust23THRUST_200600_302600_NS11hip_rocprim14__parallel_for6kernelILj256ENS1_20__uninitialized_fill7functorINS0_10device_ptrIjEEjEEmLj1EEEvT0_T1_SA_
		.amdhsa_group_segment_fixed_size 0
		.amdhsa_private_segment_fixed_size 0
		.amdhsa_kernarg_size 32
		.amdhsa_user_sgpr_count 2
		.amdhsa_user_sgpr_dispatch_ptr 0
		.amdhsa_user_sgpr_queue_ptr 0
		.amdhsa_user_sgpr_kernarg_segment_ptr 1
		.amdhsa_user_sgpr_dispatch_id 0
		.amdhsa_user_sgpr_kernarg_preload_length 0
		.amdhsa_user_sgpr_kernarg_preload_offset 0
		.amdhsa_user_sgpr_private_segment_size 0
		.amdhsa_uses_dynamic_stack 0
		.amdhsa_enable_private_segment 0
		.amdhsa_system_sgpr_workgroup_id_x 1
		.amdhsa_system_sgpr_workgroup_id_y 0
		.amdhsa_system_sgpr_workgroup_id_z 0
		.amdhsa_system_sgpr_workgroup_info 0
		.amdhsa_system_vgpr_workitem_id 0
		.amdhsa_next_free_vgpr 4
		.amdhsa_next_free_sgpr 8
		.amdhsa_accum_offset 4
		.amdhsa_reserve_vcc 1
		.amdhsa_float_round_mode_32 0
		.amdhsa_float_round_mode_16_64 0
		.amdhsa_float_denorm_mode_32 3
		.amdhsa_float_denorm_mode_16_64 3
		.amdhsa_dx10_clamp 1
		.amdhsa_ieee_mode 1
		.amdhsa_fp16_overflow 0
		.amdhsa_tg_split 0
		.amdhsa_exception_fp_ieee_invalid_op 0
		.amdhsa_exception_fp_denorm_src 0
		.amdhsa_exception_fp_ieee_div_zero 0
		.amdhsa_exception_fp_ieee_overflow 0
		.amdhsa_exception_fp_ieee_underflow 0
		.amdhsa_exception_fp_ieee_inexact 0
		.amdhsa_exception_int_div_zero 0
	.end_amdhsa_kernel
	.section	.text._ZN6thrust23THRUST_200600_302600_NS11hip_rocprim14__parallel_for6kernelILj256ENS1_20__uninitialized_fill7functorINS0_10device_ptrIjEEjEEmLj1EEEvT0_T1_SA_,"axG",@progbits,_ZN6thrust23THRUST_200600_302600_NS11hip_rocprim14__parallel_for6kernelILj256ENS1_20__uninitialized_fill7functorINS0_10device_ptrIjEEjEEmLj1EEEvT0_T1_SA_,comdat
.Lfunc_end7:
	.size	_ZN6thrust23THRUST_200600_302600_NS11hip_rocprim14__parallel_for6kernelILj256ENS1_20__uninitialized_fill7functorINS0_10device_ptrIjEEjEEmLj1EEEvT0_T1_SA_, .Lfunc_end7-_ZN6thrust23THRUST_200600_302600_NS11hip_rocprim14__parallel_for6kernelILj256ENS1_20__uninitialized_fill7functorINS0_10device_ptrIjEEjEEmLj1EEEvT0_T1_SA_
                                        ; -- End function
	.section	.AMDGPU.csdata,"",@progbits
; Kernel info:
; codeLenInByte = 144
; NumSgprs: 14
; NumVgprs: 4
; NumAgprs: 0
; TotalNumVgprs: 4
; ScratchSize: 0
; MemoryBound: 0
; FloatMode: 240
; IeeeMode: 1
; LDSByteSize: 0 bytes/workgroup (compile time only)
; SGPRBlocks: 1
; VGPRBlocks: 0
; NumSGPRsForWavesPerEU: 14
; NumVGPRsForWavesPerEU: 4
; AccumOffset: 4
; Occupancy: 8
; WaveLimiterHint : 0
; COMPUTE_PGM_RSRC2:SCRATCH_EN: 0
; COMPUTE_PGM_RSRC2:USER_SGPR: 2
; COMPUTE_PGM_RSRC2:TRAP_HANDLER: 0
; COMPUTE_PGM_RSRC2:TGID_X_EN: 1
; COMPUTE_PGM_RSRC2:TGID_Y_EN: 0
; COMPUTE_PGM_RSRC2:TGID_Z_EN: 0
; COMPUTE_PGM_RSRC2:TIDIG_COMP_CNT: 0
; COMPUTE_PGM_RSRC3_GFX90A:ACCUM_OFFSET: 0
; COMPUTE_PGM_RSRC3_GFX90A:TG_SPLIT: 0
	.section	.text._ZN7rocprim17ROCPRIM_400000_NS6detail44device_merge_sort_compile_time_verifier_archINS1_11comp_targetILNS1_3genE0ELNS1_11target_archE4294967295ELNS1_3gpuE0ELNS1_3repE0EEES8_NS0_14default_configES9_NS1_37merge_sort_block_sort_config_selectorIN6thrust23THRUST_200600_302600_NS5tupleIffNSC_9null_typeESE_SE_SE_SE_SE_SE_SE_EENS0_10empty_typeEEENS1_38merge_sort_block_merge_config_selectorISF_SG_EEEEvv,"axG",@progbits,_ZN7rocprim17ROCPRIM_400000_NS6detail44device_merge_sort_compile_time_verifier_archINS1_11comp_targetILNS1_3genE0ELNS1_11target_archE4294967295ELNS1_3gpuE0ELNS1_3repE0EEES8_NS0_14default_configES9_NS1_37merge_sort_block_sort_config_selectorIN6thrust23THRUST_200600_302600_NS5tupleIffNSC_9null_typeESE_SE_SE_SE_SE_SE_SE_EENS0_10empty_typeEEENS1_38merge_sort_block_merge_config_selectorISF_SG_EEEEvv,comdat
	.protected	_ZN7rocprim17ROCPRIM_400000_NS6detail44device_merge_sort_compile_time_verifier_archINS1_11comp_targetILNS1_3genE0ELNS1_11target_archE4294967295ELNS1_3gpuE0ELNS1_3repE0EEES8_NS0_14default_configES9_NS1_37merge_sort_block_sort_config_selectorIN6thrust23THRUST_200600_302600_NS5tupleIffNSC_9null_typeESE_SE_SE_SE_SE_SE_SE_EENS0_10empty_typeEEENS1_38merge_sort_block_merge_config_selectorISF_SG_EEEEvv ; -- Begin function _ZN7rocprim17ROCPRIM_400000_NS6detail44device_merge_sort_compile_time_verifier_archINS1_11comp_targetILNS1_3genE0ELNS1_11target_archE4294967295ELNS1_3gpuE0ELNS1_3repE0EEES8_NS0_14default_configES9_NS1_37merge_sort_block_sort_config_selectorIN6thrust23THRUST_200600_302600_NS5tupleIffNSC_9null_typeESE_SE_SE_SE_SE_SE_SE_EENS0_10empty_typeEEENS1_38merge_sort_block_merge_config_selectorISF_SG_EEEEvv
	.globl	_ZN7rocprim17ROCPRIM_400000_NS6detail44device_merge_sort_compile_time_verifier_archINS1_11comp_targetILNS1_3genE0ELNS1_11target_archE4294967295ELNS1_3gpuE0ELNS1_3repE0EEES8_NS0_14default_configES9_NS1_37merge_sort_block_sort_config_selectorIN6thrust23THRUST_200600_302600_NS5tupleIffNSC_9null_typeESE_SE_SE_SE_SE_SE_SE_EENS0_10empty_typeEEENS1_38merge_sort_block_merge_config_selectorISF_SG_EEEEvv
	.p2align	8
	.type	_ZN7rocprim17ROCPRIM_400000_NS6detail44device_merge_sort_compile_time_verifier_archINS1_11comp_targetILNS1_3genE0ELNS1_11target_archE4294967295ELNS1_3gpuE0ELNS1_3repE0EEES8_NS0_14default_configES9_NS1_37merge_sort_block_sort_config_selectorIN6thrust23THRUST_200600_302600_NS5tupleIffNSC_9null_typeESE_SE_SE_SE_SE_SE_SE_EENS0_10empty_typeEEENS1_38merge_sort_block_merge_config_selectorISF_SG_EEEEvv,@function
_ZN7rocprim17ROCPRIM_400000_NS6detail44device_merge_sort_compile_time_verifier_archINS1_11comp_targetILNS1_3genE0ELNS1_11target_archE4294967295ELNS1_3gpuE0ELNS1_3repE0EEES8_NS0_14default_configES9_NS1_37merge_sort_block_sort_config_selectorIN6thrust23THRUST_200600_302600_NS5tupleIffNSC_9null_typeESE_SE_SE_SE_SE_SE_SE_EENS0_10empty_typeEEENS1_38merge_sort_block_merge_config_selectorISF_SG_EEEEvv: ; @_ZN7rocprim17ROCPRIM_400000_NS6detail44device_merge_sort_compile_time_verifier_archINS1_11comp_targetILNS1_3genE0ELNS1_11target_archE4294967295ELNS1_3gpuE0ELNS1_3repE0EEES8_NS0_14default_configES9_NS1_37merge_sort_block_sort_config_selectorIN6thrust23THRUST_200600_302600_NS5tupleIffNSC_9null_typeESE_SE_SE_SE_SE_SE_SE_EENS0_10empty_typeEEENS1_38merge_sort_block_merge_config_selectorISF_SG_EEEEvv
; %bb.0:
	s_endpgm
	.section	.rodata,"a",@progbits
	.p2align	6, 0x0
	.amdhsa_kernel _ZN7rocprim17ROCPRIM_400000_NS6detail44device_merge_sort_compile_time_verifier_archINS1_11comp_targetILNS1_3genE0ELNS1_11target_archE4294967295ELNS1_3gpuE0ELNS1_3repE0EEES8_NS0_14default_configES9_NS1_37merge_sort_block_sort_config_selectorIN6thrust23THRUST_200600_302600_NS5tupleIffNSC_9null_typeESE_SE_SE_SE_SE_SE_SE_EENS0_10empty_typeEEENS1_38merge_sort_block_merge_config_selectorISF_SG_EEEEvv
		.amdhsa_group_segment_fixed_size 0
		.amdhsa_private_segment_fixed_size 0
		.amdhsa_kernarg_size 0
		.amdhsa_user_sgpr_count 0
		.amdhsa_user_sgpr_dispatch_ptr 0
		.amdhsa_user_sgpr_queue_ptr 0
		.amdhsa_user_sgpr_kernarg_segment_ptr 0
		.amdhsa_user_sgpr_dispatch_id 0
		.amdhsa_user_sgpr_kernarg_preload_length 0
		.amdhsa_user_sgpr_kernarg_preload_offset 0
		.amdhsa_user_sgpr_private_segment_size 0
		.amdhsa_uses_dynamic_stack 0
		.amdhsa_enable_private_segment 0
		.amdhsa_system_sgpr_workgroup_id_x 1
		.amdhsa_system_sgpr_workgroup_id_y 0
		.amdhsa_system_sgpr_workgroup_id_z 0
		.amdhsa_system_sgpr_workgroup_info 0
		.amdhsa_system_vgpr_workitem_id 0
		.amdhsa_next_free_vgpr 1
		.amdhsa_next_free_sgpr 0
		.amdhsa_accum_offset 4
		.amdhsa_reserve_vcc 0
		.amdhsa_float_round_mode_32 0
		.amdhsa_float_round_mode_16_64 0
		.amdhsa_float_denorm_mode_32 3
		.amdhsa_float_denorm_mode_16_64 3
		.amdhsa_dx10_clamp 1
		.amdhsa_ieee_mode 1
		.amdhsa_fp16_overflow 0
		.amdhsa_tg_split 0
		.amdhsa_exception_fp_ieee_invalid_op 0
		.amdhsa_exception_fp_denorm_src 0
		.amdhsa_exception_fp_ieee_div_zero 0
		.amdhsa_exception_fp_ieee_overflow 0
		.amdhsa_exception_fp_ieee_underflow 0
		.amdhsa_exception_fp_ieee_inexact 0
		.amdhsa_exception_int_div_zero 0
	.end_amdhsa_kernel
	.section	.text._ZN7rocprim17ROCPRIM_400000_NS6detail44device_merge_sort_compile_time_verifier_archINS1_11comp_targetILNS1_3genE0ELNS1_11target_archE4294967295ELNS1_3gpuE0ELNS1_3repE0EEES8_NS0_14default_configES9_NS1_37merge_sort_block_sort_config_selectorIN6thrust23THRUST_200600_302600_NS5tupleIffNSC_9null_typeESE_SE_SE_SE_SE_SE_SE_EENS0_10empty_typeEEENS1_38merge_sort_block_merge_config_selectorISF_SG_EEEEvv,"axG",@progbits,_ZN7rocprim17ROCPRIM_400000_NS6detail44device_merge_sort_compile_time_verifier_archINS1_11comp_targetILNS1_3genE0ELNS1_11target_archE4294967295ELNS1_3gpuE0ELNS1_3repE0EEES8_NS0_14default_configES9_NS1_37merge_sort_block_sort_config_selectorIN6thrust23THRUST_200600_302600_NS5tupleIffNSC_9null_typeESE_SE_SE_SE_SE_SE_SE_EENS0_10empty_typeEEENS1_38merge_sort_block_merge_config_selectorISF_SG_EEEEvv,comdat
.Lfunc_end8:
	.size	_ZN7rocprim17ROCPRIM_400000_NS6detail44device_merge_sort_compile_time_verifier_archINS1_11comp_targetILNS1_3genE0ELNS1_11target_archE4294967295ELNS1_3gpuE0ELNS1_3repE0EEES8_NS0_14default_configES9_NS1_37merge_sort_block_sort_config_selectorIN6thrust23THRUST_200600_302600_NS5tupleIffNSC_9null_typeESE_SE_SE_SE_SE_SE_SE_EENS0_10empty_typeEEENS1_38merge_sort_block_merge_config_selectorISF_SG_EEEEvv, .Lfunc_end8-_ZN7rocprim17ROCPRIM_400000_NS6detail44device_merge_sort_compile_time_verifier_archINS1_11comp_targetILNS1_3genE0ELNS1_11target_archE4294967295ELNS1_3gpuE0ELNS1_3repE0EEES8_NS0_14default_configES9_NS1_37merge_sort_block_sort_config_selectorIN6thrust23THRUST_200600_302600_NS5tupleIffNSC_9null_typeESE_SE_SE_SE_SE_SE_SE_EENS0_10empty_typeEEENS1_38merge_sort_block_merge_config_selectorISF_SG_EEEEvv
                                        ; -- End function
	.section	.AMDGPU.csdata,"",@progbits
; Kernel info:
; codeLenInByte = 4
; NumSgprs: 6
; NumVgprs: 0
; NumAgprs: 0
; TotalNumVgprs: 0
; ScratchSize: 0
; MemoryBound: 0
; FloatMode: 240
; IeeeMode: 1
; LDSByteSize: 0 bytes/workgroup (compile time only)
; SGPRBlocks: 0
; VGPRBlocks: 0
; NumSGPRsForWavesPerEU: 6
; NumVGPRsForWavesPerEU: 1
; AccumOffset: 4
; Occupancy: 8
; WaveLimiterHint : 0
; COMPUTE_PGM_RSRC2:SCRATCH_EN: 0
; COMPUTE_PGM_RSRC2:USER_SGPR: 0
; COMPUTE_PGM_RSRC2:TRAP_HANDLER: 0
; COMPUTE_PGM_RSRC2:TGID_X_EN: 1
; COMPUTE_PGM_RSRC2:TGID_Y_EN: 0
; COMPUTE_PGM_RSRC2:TGID_Z_EN: 0
; COMPUTE_PGM_RSRC2:TIDIG_COMP_CNT: 0
; COMPUTE_PGM_RSRC3_GFX90A:ACCUM_OFFSET: 0
; COMPUTE_PGM_RSRC3_GFX90A:TG_SPLIT: 0
	.section	.text._ZN7rocprim17ROCPRIM_400000_NS6detail44device_merge_sort_compile_time_verifier_archINS1_11comp_targetILNS1_3genE5ELNS1_11target_archE942ELNS1_3gpuE9ELNS1_3repE0EEES8_NS0_14default_configES9_NS1_37merge_sort_block_sort_config_selectorIN6thrust23THRUST_200600_302600_NS5tupleIffNSC_9null_typeESE_SE_SE_SE_SE_SE_SE_EENS0_10empty_typeEEENS1_38merge_sort_block_merge_config_selectorISF_SG_EEEEvv,"axG",@progbits,_ZN7rocprim17ROCPRIM_400000_NS6detail44device_merge_sort_compile_time_verifier_archINS1_11comp_targetILNS1_3genE5ELNS1_11target_archE942ELNS1_3gpuE9ELNS1_3repE0EEES8_NS0_14default_configES9_NS1_37merge_sort_block_sort_config_selectorIN6thrust23THRUST_200600_302600_NS5tupleIffNSC_9null_typeESE_SE_SE_SE_SE_SE_SE_EENS0_10empty_typeEEENS1_38merge_sort_block_merge_config_selectorISF_SG_EEEEvv,comdat
	.protected	_ZN7rocprim17ROCPRIM_400000_NS6detail44device_merge_sort_compile_time_verifier_archINS1_11comp_targetILNS1_3genE5ELNS1_11target_archE942ELNS1_3gpuE9ELNS1_3repE0EEES8_NS0_14default_configES9_NS1_37merge_sort_block_sort_config_selectorIN6thrust23THRUST_200600_302600_NS5tupleIffNSC_9null_typeESE_SE_SE_SE_SE_SE_SE_EENS0_10empty_typeEEENS1_38merge_sort_block_merge_config_selectorISF_SG_EEEEvv ; -- Begin function _ZN7rocprim17ROCPRIM_400000_NS6detail44device_merge_sort_compile_time_verifier_archINS1_11comp_targetILNS1_3genE5ELNS1_11target_archE942ELNS1_3gpuE9ELNS1_3repE0EEES8_NS0_14default_configES9_NS1_37merge_sort_block_sort_config_selectorIN6thrust23THRUST_200600_302600_NS5tupleIffNSC_9null_typeESE_SE_SE_SE_SE_SE_SE_EENS0_10empty_typeEEENS1_38merge_sort_block_merge_config_selectorISF_SG_EEEEvv
	.globl	_ZN7rocprim17ROCPRIM_400000_NS6detail44device_merge_sort_compile_time_verifier_archINS1_11comp_targetILNS1_3genE5ELNS1_11target_archE942ELNS1_3gpuE9ELNS1_3repE0EEES8_NS0_14default_configES9_NS1_37merge_sort_block_sort_config_selectorIN6thrust23THRUST_200600_302600_NS5tupleIffNSC_9null_typeESE_SE_SE_SE_SE_SE_SE_EENS0_10empty_typeEEENS1_38merge_sort_block_merge_config_selectorISF_SG_EEEEvv
	.p2align	8
	.type	_ZN7rocprim17ROCPRIM_400000_NS6detail44device_merge_sort_compile_time_verifier_archINS1_11comp_targetILNS1_3genE5ELNS1_11target_archE942ELNS1_3gpuE9ELNS1_3repE0EEES8_NS0_14default_configES9_NS1_37merge_sort_block_sort_config_selectorIN6thrust23THRUST_200600_302600_NS5tupleIffNSC_9null_typeESE_SE_SE_SE_SE_SE_SE_EENS0_10empty_typeEEENS1_38merge_sort_block_merge_config_selectorISF_SG_EEEEvv,@function
_ZN7rocprim17ROCPRIM_400000_NS6detail44device_merge_sort_compile_time_verifier_archINS1_11comp_targetILNS1_3genE5ELNS1_11target_archE942ELNS1_3gpuE9ELNS1_3repE0EEES8_NS0_14default_configES9_NS1_37merge_sort_block_sort_config_selectorIN6thrust23THRUST_200600_302600_NS5tupleIffNSC_9null_typeESE_SE_SE_SE_SE_SE_SE_EENS0_10empty_typeEEENS1_38merge_sort_block_merge_config_selectorISF_SG_EEEEvv: ; @_ZN7rocprim17ROCPRIM_400000_NS6detail44device_merge_sort_compile_time_verifier_archINS1_11comp_targetILNS1_3genE5ELNS1_11target_archE942ELNS1_3gpuE9ELNS1_3repE0EEES8_NS0_14default_configES9_NS1_37merge_sort_block_sort_config_selectorIN6thrust23THRUST_200600_302600_NS5tupleIffNSC_9null_typeESE_SE_SE_SE_SE_SE_SE_EENS0_10empty_typeEEENS1_38merge_sort_block_merge_config_selectorISF_SG_EEEEvv
; %bb.0:
	s_endpgm
	.section	.rodata,"a",@progbits
	.p2align	6, 0x0
	.amdhsa_kernel _ZN7rocprim17ROCPRIM_400000_NS6detail44device_merge_sort_compile_time_verifier_archINS1_11comp_targetILNS1_3genE5ELNS1_11target_archE942ELNS1_3gpuE9ELNS1_3repE0EEES8_NS0_14default_configES9_NS1_37merge_sort_block_sort_config_selectorIN6thrust23THRUST_200600_302600_NS5tupleIffNSC_9null_typeESE_SE_SE_SE_SE_SE_SE_EENS0_10empty_typeEEENS1_38merge_sort_block_merge_config_selectorISF_SG_EEEEvv
		.amdhsa_group_segment_fixed_size 0
		.amdhsa_private_segment_fixed_size 0
		.amdhsa_kernarg_size 0
		.amdhsa_user_sgpr_count 0
		.amdhsa_user_sgpr_dispatch_ptr 0
		.amdhsa_user_sgpr_queue_ptr 0
		.amdhsa_user_sgpr_kernarg_segment_ptr 0
		.amdhsa_user_sgpr_dispatch_id 0
		.amdhsa_user_sgpr_kernarg_preload_length 0
		.amdhsa_user_sgpr_kernarg_preload_offset 0
		.amdhsa_user_sgpr_private_segment_size 0
		.amdhsa_uses_dynamic_stack 0
		.amdhsa_enable_private_segment 0
		.amdhsa_system_sgpr_workgroup_id_x 1
		.amdhsa_system_sgpr_workgroup_id_y 0
		.amdhsa_system_sgpr_workgroup_id_z 0
		.amdhsa_system_sgpr_workgroup_info 0
		.amdhsa_system_vgpr_workitem_id 0
		.amdhsa_next_free_vgpr 1
		.amdhsa_next_free_sgpr 0
		.amdhsa_accum_offset 4
		.amdhsa_reserve_vcc 0
		.amdhsa_float_round_mode_32 0
		.amdhsa_float_round_mode_16_64 0
		.amdhsa_float_denorm_mode_32 3
		.amdhsa_float_denorm_mode_16_64 3
		.amdhsa_dx10_clamp 1
		.amdhsa_ieee_mode 1
		.amdhsa_fp16_overflow 0
		.amdhsa_tg_split 0
		.amdhsa_exception_fp_ieee_invalid_op 0
		.amdhsa_exception_fp_denorm_src 0
		.amdhsa_exception_fp_ieee_div_zero 0
		.amdhsa_exception_fp_ieee_overflow 0
		.amdhsa_exception_fp_ieee_underflow 0
		.amdhsa_exception_fp_ieee_inexact 0
		.amdhsa_exception_int_div_zero 0
	.end_amdhsa_kernel
	.section	.text._ZN7rocprim17ROCPRIM_400000_NS6detail44device_merge_sort_compile_time_verifier_archINS1_11comp_targetILNS1_3genE5ELNS1_11target_archE942ELNS1_3gpuE9ELNS1_3repE0EEES8_NS0_14default_configES9_NS1_37merge_sort_block_sort_config_selectorIN6thrust23THRUST_200600_302600_NS5tupleIffNSC_9null_typeESE_SE_SE_SE_SE_SE_SE_EENS0_10empty_typeEEENS1_38merge_sort_block_merge_config_selectorISF_SG_EEEEvv,"axG",@progbits,_ZN7rocprim17ROCPRIM_400000_NS6detail44device_merge_sort_compile_time_verifier_archINS1_11comp_targetILNS1_3genE5ELNS1_11target_archE942ELNS1_3gpuE9ELNS1_3repE0EEES8_NS0_14default_configES9_NS1_37merge_sort_block_sort_config_selectorIN6thrust23THRUST_200600_302600_NS5tupleIffNSC_9null_typeESE_SE_SE_SE_SE_SE_SE_EENS0_10empty_typeEEENS1_38merge_sort_block_merge_config_selectorISF_SG_EEEEvv,comdat
.Lfunc_end9:
	.size	_ZN7rocprim17ROCPRIM_400000_NS6detail44device_merge_sort_compile_time_verifier_archINS1_11comp_targetILNS1_3genE5ELNS1_11target_archE942ELNS1_3gpuE9ELNS1_3repE0EEES8_NS0_14default_configES9_NS1_37merge_sort_block_sort_config_selectorIN6thrust23THRUST_200600_302600_NS5tupleIffNSC_9null_typeESE_SE_SE_SE_SE_SE_SE_EENS0_10empty_typeEEENS1_38merge_sort_block_merge_config_selectorISF_SG_EEEEvv, .Lfunc_end9-_ZN7rocprim17ROCPRIM_400000_NS6detail44device_merge_sort_compile_time_verifier_archINS1_11comp_targetILNS1_3genE5ELNS1_11target_archE942ELNS1_3gpuE9ELNS1_3repE0EEES8_NS0_14default_configES9_NS1_37merge_sort_block_sort_config_selectorIN6thrust23THRUST_200600_302600_NS5tupleIffNSC_9null_typeESE_SE_SE_SE_SE_SE_SE_EENS0_10empty_typeEEENS1_38merge_sort_block_merge_config_selectorISF_SG_EEEEvv
                                        ; -- End function
	.section	.AMDGPU.csdata,"",@progbits
; Kernel info:
; codeLenInByte = 4
; NumSgprs: 6
; NumVgprs: 0
; NumAgprs: 0
; TotalNumVgprs: 0
; ScratchSize: 0
; MemoryBound: 0
; FloatMode: 240
; IeeeMode: 1
; LDSByteSize: 0 bytes/workgroup (compile time only)
; SGPRBlocks: 0
; VGPRBlocks: 0
; NumSGPRsForWavesPerEU: 6
; NumVGPRsForWavesPerEU: 1
; AccumOffset: 4
; Occupancy: 8
; WaveLimiterHint : 0
; COMPUTE_PGM_RSRC2:SCRATCH_EN: 0
; COMPUTE_PGM_RSRC2:USER_SGPR: 0
; COMPUTE_PGM_RSRC2:TRAP_HANDLER: 0
; COMPUTE_PGM_RSRC2:TGID_X_EN: 1
; COMPUTE_PGM_RSRC2:TGID_Y_EN: 0
; COMPUTE_PGM_RSRC2:TGID_Z_EN: 0
; COMPUTE_PGM_RSRC2:TIDIG_COMP_CNT: 0
; COMPUTE_PGM_RSRC3_GFX90A:ACCUM_OFFSET: 0
; COMPUTE_PGM_RSRC3_GFX90A:TG_SPLIT: 0
	.section	.text._ZN7rocprim17ROCPRIM_400000_NS6detail44device_merge_sort_compile_time_verifier_archINS1_11comp_targetILNS1_3genE4ELNS1_11target_archE910ELNS1_3gpuE8ELNS1_3repE0EEES8_NS0_14default_configES9_NS1_37merge_sort_block_sort_config_selectorIN6thrust23THRUST_200600_302600_NS5tupleIffNSC_9null_typeESE_SE_SE_SE_SE_SE_SE_EENS0_10empty_typeEEENS1_38merge_sort_block_merge_config_selectorISF_SG_EEEEvv,"axG",@progbits,_ZN7rocprim17ROCPRIM_400000_NS6detail44device_merge_sort_compile_time_verifier_archINS1_11comp_targetILNS1_3genE4ELNS1_11target_archE910ELNS1_3gpuE8ELNS1_3repE0EEES8_NS0_14default_configES9_NS1_37merge_sort_block_sort_config_selectorIN6thrust23THRUST_200600_302600_NS5tupleIffNSC_9null_typeESE_SE_SE_SE_SE_SE_SE_EENS0_10empty_typeEEENS1_38merge_sort_block_merge_config_selectorISF_SG_EEEEvv,comdat
	.protected	_ZN7rocprim17ROCPRIM_400000_NS6detail44device_merge_sort_compile_time_verifier_archINS1_11comp_targetILNS1_3genE4ELNS1_11target_archE910ELNS1_3gpuE8ELNS1_3repE0EEES8_NS0_14default_configES9_NS1_37merge_sort_block_sort_config_selectorIN6thrust23THRUST_200600_302600_NS5tupleIffNSC_9null_typeESE_SE_SE_SE_SE_SE_SE_EENS0_10empty_typeEEENS1_38merge_sort_block_merge_config_selectorISF_SG_EEEEvv ; -- Begin function _ZN7rocprim17ROCPRIM_400000_NS6detail44device_merge_sort_compile_time_verifier_archINS1_11comp_targetILNS1_3genE4ELNS1_11target_archE910ELNS1_3gpuE8ELNS1_3repE0EEES8_NS0_14default_configES9_NS1_37merge_sort_block_sort_config_selectorIN6thrust23THRUST_200600_302600_NS5tupleIffNSC_9null_typeESE_SE_SE_SE_SE_SE_SE_EENS0_10empty_typeEEENS1_38merge_sort_block_merge_config_selectorISF_SG_EEEEvv
	.globl	_ZN7rocprim17ROCPRIM_400000_NS6detail44device_merge_sort_compile_time_verifier_archINS1_11comp_targetILNS1_3genE4ELNS1_11target_archE910ELNS1_3gpuE8ELNS1_3repE0EEES8_NS0_14default_configES9_NS1_37merge_sort_block_sort_config_selectorIN6thrust23THRUST_200600_302600_NS5tupleIffNSC_9null_typeESE_SE_SE_SE_SE_SE_SE_EENS0_10empty_typeEEENS1_38merge_sort_block_merge_config_selectorISF_SG_EEEEvv
	.p2align	8
	.type	_ZN7rocprim17ROCPRIM_400000_NS6detail44device_merge_sort_compile_time_verifier_archINS1_11comp_targetILNS1_3genE4ELNS1_11target_archE910ELNS1_3gpuE8ELNS1_3repE0EEES8_NS0_14default_configES9_NS1_37merge_sort_block_sort_config_selectorIN6thrust23THRUST_200600_302600_NS5tupleIffNSC_9null_typeESE_SE_SE_SE_SE_SE_SE_EENS0_10empty_typeEEENS1_38merge_sort_block_merge_config_selectorISF_SG_EEEEvv,@function
_ZN7rocprim17ROCPRIM_400000_NS6detail44device_merge_sort_compile_time_verifier_archINS1_11comp_targetILNS1_3genE4ELNS1_11target_archE910ELNS1_3gpuE8ELNS1_3repE0EEES8_NS0_14default_configES9_NS1_37merge_sort_block_sort_config_selectorIN6thrust23THRUST_200600_302600_NS5tupleIffNSC_9null_typeESE_SE_SE_SE_SE_SE_SE_EENS0_10empty_typeEEENS1_38merge_sort_block_merge_config_selectorISF_SG_EEEEvv: ; @_ZN7rocprim17ROCPRIM_400000_NS6detail44device_merge_sort_compile_time_verifier_archINS1_11comp_targetILNS1_3genE4ELNS1_11target_archE910ELNS1_3gpuE8ELNS1_3repE0EEES8_NS0_14default_configES9_NS1_37merge_sort_block_sort_config_selectorIN6thrust23THRUST_200600_302600_NS5tupleIffNSC_9null_typeESE_SE_SE_SE_SE_SE_SE_EENS0_10empty_typeEEENS1_38merge_sort_block_merge_config_selectorISF_SG_EEEEvv
; %bb.0:
	s_endpgm
	.section	.rodata,"a",@progbits
	.p2align	6, 0x0
	.amdhsa_kernel _ZN7rocprim17ROCPRIM_400000_NS6detail44device_merge_sort_compile_time_verifier_archINS1_11comp_targetILNS1_3genE4ELNS1_11target_archE910ELNS1_3gpuE8ELNS1_3repE0EEES8_NS0_14default_configES9_NS1_37merge_sort_block_sort_config_selectorIN6thrust23THRUST_200600_302600_NS5tupleIffNSC_9null_typeESE_SE_SE_SE_SE_SE_SE_EENS0_10empty_typeEEENS1_38merge_sort_block_merge_config_selectorISF_SG_EEEEvv
		.amdhsa_group_segment_fixed_size 0
		.amdhsa_private_segment_fixed_size 0
		.amdhsa_kernarg_size 0
		.amdhsa_user_sgpr_count 0
		.amdhsa_user_sgpr_dispatch_ptr 0
		.amdhsa_user_sgpr_queue_ptr 0
		.amdhsa_user_sgpr_kernarg_segment_ptr 0
		.amdhsa_user_sgpr_dispatch_id 0
		.amdhsa_user_sgpr_kernarg_preload_length 0
		.amdhsa_user_sgpr_kernarg_preload_offset 0
		.amdhsa_user_sgpr_private_segment_size 0
		.amdhsa_uses_dynamic_stack 0
		.amdhsa_enable_private_segment 0
		.amdhsa_system_sgpr_workgroup_id_x 1
		.amdhsa_system_sgpr_workgroup_id_y 0
		.amdhsa_system_sgpr_workgroup_id_z 0
		.amdhsa_system_sgpr_workgroup_info 0
		.amdhsa_system_vgpr_workitem_id 0
		.amdhsa_next_free_vgpr 1
		.amdhsa_next_free_sgpr 0
		.amdhsa_accum_offset 4
		.amdhsa_reserve_vcc 0
		.amdhsa_float_round_mode_32 0
		.amdhsa_float_round_mode_16_64 0
		.amdhsa_float_denorm_mode_32 3
		.amdhsa_float_denorm_mode_16_64 3
		.amdhsa_dx10_clamp 1
		.amdhsa_ieee_mode 1
		.amdhsa_fp16_overflow 0
		.amdhsa_tg_split 0
		.amdhsa_exception_fp_ieee_invalid_op 0
		.amdhsa_exception_fp_denorm_src 0
		.amdhsa_exception_fp_ieee_div_zero 0
		.amdhsa_exception_fp_ieee_overflow 0
		.amdhsa_exception_fp_ieee_underflow 0
		.amdhsa_exception_fp_ieee_inexact 0
		.amdhsa_exception_int_div_zero 0
	.end_amdhsa_kernel
	.section	.text._ZN7rocprim17ROCPRIM_400000_NS6detail44device_merge_sort_compile_time_verifier_archINS1_11comp_targetILNS1_3genE4ELNS1_11target_archE910ELNS1_3gpuE8ELNS1_3repE0EEES8_NS0_14default_configES9_NS1_37merge_sort_block_sort_config_selectorIN6thrust23THRUST_200600_302600_NS5tupleIffNSC_9null_typeESE_SE_SE_SE_SE_SE_SE_EENS0_10empty_typeEEENS1_38merge_sort_block_merge_config_selectorISF_SG_EEEEvv,"axG",@progbits,_ZN7rocprim17ROCPRIM_400000_NS6detail44device_merge_sort_compile_time_verifier_archINS1_11comp_targetILNS1_3genE4ELNS1_11target_archE910ELNS1_3gpuE8ELNS1_3repE0EEES8_NS0_14default_configES9_NS1_37merge_sort_block_sort_config_selectorIN6thrust23THRUST_200600_302600_NS5tupleIffNSC_9null_typeESE_SE_SE_SE_SE_SE_SE_EENS0_10empty_typeEEENS1_38merge_sort_block_merge_config_selectorISF_SG_EEEEvv,comdat
.Lfunc_end10:
	.size	_ZN7rocprim17ROCPRIM_400000_NS6detail44device_merge_sort_compile_time_verifier_archINS1_11comp_targetILNS1_3genE4ELNS1_11target_archE910ELNS1_3gpuE8ELNS1_3repE0EEES8_NS0_14default_configES9_NS1_37merge_sort_block_sort_config_selectorIN6thrust23THRUST_200600_302600_NS5tupleIffNSC_9null_typeESE_SE_SE_SE_SE_SE_SE_EENS0_10empty_typeEEENS1_38merge_sort_block_merge_config_selectorISF_SG_EEEEvv, .Lfunc_end10-_ZN7rocprim17ROCPRIM_400000_NS6detail44device_merge_sort_compile_time_verifier_archINS1_11comp_targetILNS1_3genE4ELNS1_11target_archE910ELNS1_3gpuE8ELNS1_3repE0EEES8_NS0_14default_configES9_NS1_37merge_sort_block_sort_config_selectorIN6thrust23THRUST_200600_302600_NS5tupleIffNSC_9null_typeESE_SE_SE_SE_SE_SE_SE_EENS0_10empty_typeEEENS1_38merge_sort_block_merge_config_selectorISF_SG_EEEEvv
                                        ; -- End function
	.section	.AMDGPU.csdata,"",@progbits
; Kernel info:
; codeLenInByte = 4
; NumSgprs: 6
; NumVgprs: 0
; NumAgprs: 0
; TotalNumVgprs: 0
; ScratchSize: 0
; MemoryBound: 0
; FloatMode: 240
; IeeeMode: 1
; LDSByteSize: 0 bytes/workgroup (compile time only)
; SGPRBlocks: 0
; VGPRBlocks: 0
; NumSGPRsForWavesPerEU: 6
; NumVGPRsForWavesPerEU: 1
; AccumOffset: 4
; Occupancy: 8
; WaveLimiterHint : 0
; COMPUTE_PGM_RSRC2:SCRATCH_EN: 0
; COMPUTE_PGM_RSRC2:USER_SGPR: 0
; COMPUTE_PGM_RSRC2:TRAP_HANDLER: 0
; COMPUTE_PGM_RSRC2:TGID_X_EN: 1
; COMPUTE_PGM_RSRC2:TGID_Y_EN: 0
; COMPUTE_PGM_RSRC2:TGID_Z_EN: 0
; COMPUTE_PGM_RSRC2:TIDIG_COMP_CNT: 0
; COMPUTE_PGM_RSRC3_GFX90A:ACCUM_OFFSET: 0
; COMPUTE_PGM_RSRC3_GFX90A:TG_SPLIT: 0
	.section	.text._ZN7rocprim17ROCPRIM_400000_NS6detail44device_merge_sort_compile_time_verifier_archINS1_11comp_targetILNS1_3genE3ELNS1_11target_archE908ELNS1_3gpuE7ELNS1_3repE0EEES8_NS0_14default_configES9_NS1_37merge_sort_block_sort_config_selectorIN6thrust23THRUST_200600_302600_NS5tupleIffNSC_9null_typeESE_SE_SE_SE_SE_SE_SE_EENS0_10empty_typeEEENS1_38merge_sort_block_merge_config_selectorISF_SG_EEEEvv,"axG",@progbits,_ZN7rocprim17ROCPRIM_400000_NS6detail44device_merge_sort_compile_time_verifier_archINS1_11comp_targetILNS1_3genE3ELNS1_11target_archE908ELNS1_3gpuE7ELNS1_3repE0EEES8_NS0_14default_configES9_NS1_37merge_sort_block_sort_config_selectorIN6thrust23THRUST_200600_302600_NS5tupleIffNSC_9null_typeESE_SE_SE_SE_SE_SE_SE_EENS0_10empty_typeEEENS1_38merge_sort_block_merge_config_selectorISF_SG_EEEEvv,comdat
	.protected	_ZN7rocprim17ROCPRIM_400000_NS6detail44device_merge_sort_compile_time_verifier_archINS1_11comp_targetILNS1_3genE3ELNS1_11target_archE908ELNS1_3gpuE7ELNS1_3repE0EEES8_NS0_14default_configES9_NS1_37merge_sort_block_sort_config_selectorIN6thrust23THRUST_200600_302600_NS5tupleIffNSC_9null_typeESE_SE_SE_SE_SE_SE_SE_EENS0_10empty_typeEEENS1_38merge_sort_block_merge_config_selectorISF_SG_EEEEvv ; -- Begin function _ZN7rocprim17ROCPRIM_400000_NS6detail44device_merge_sort_compile_time_verifier_archINS1_11comp_targetILNS1_3genE3ELNS1_11target_archE908ELNS1_3gpuE7ELNS1_3repE0EEES8_NS0_14default_configES9_NS1_37merge_sort_block_sort_config_selectorIN6thrust23THRUST_200600_302600_NS5tupleIffNSC_9null_typeESE_SE_SE_SE_SE_SE_SE_EENS0_10empty_typeEEENS1_38merge_sort_block_merge_config_selectorISF_SG_EEEEvv
	.globl	_ZN7rocprim17ROCPRIM_400000_NS6detail44device_merge_sort_compile_time_verifier_archINS1_11comp_targetILNS1_3genE3ELNS1_11target_archE908ELNS1_3gpuE7ELNS1_3repE0EEES8_NS0_14default_configES9_NS1_37merge_sort_block_sort_config_selectorIN6thrust23THRUST_200600_302600_NS5tupleIffNSC_9null_typeESE_SE_SE_SE_SE_SE_SE_EENS0_10empty_typeEEENS1_38merge_sort_block_merge_config_selectorISF_SG_EEEEvv
	.p2align	8
	.type	_ZN7rocprim17ROCPRIM_400000_NS6detail44device_merge_sort_compile_time_verifier_archINS1_11comp_targetILNS1_3genE3ELNS1_11target_archE908ELNS1_3gpuE7ELNS1_3repE0EEES8_NS0_14default_configES9_NS1_37merge_sort_block_sort_config_selectorIN6thrust23THRUST_200600_302600_NS5tupleIffNSC_9null_typeESE_SE_SE_SE_SE_SE_SE_EENS0_10empty_typeEEENS1_38merge_sort_block_merge_config_selectorISF_SG_EEEEvv,@function
_ZN7rocprim17ROCPRIM_400000_NS6detail44device_merge_sort_compile_time_verifier_archINS1_11comp_targetILNS1_3genE3ELNS1_11target_archE908ELNS1_3gpuE7ELNS1_3repE0EEES8_NS0_14default_configES9_NS1_37merge_sort_block_sort_config_selectorIN6thrust23THRUST_200600_302600_NS5tupleIffNSC_9null_typeESE_SE_SE_SE_SE_SE_SE_EENS0_10empty_typeEEENS1_38merge_sort_block_merge_config_selectorISF_SG_EEEEvv: ; @_ZN7rocprim17ROCPRIM_400000_NS6detail44device_merge_sort_compile_time_verifier_archINS1_11comp_targetILNS1_3genE3ELNS1_11target_archE908ELNS1_3gpuE7ELNS1_3repE0EEES8_NS0_14default_configES9_NS1_37merge_sort_block_sort_config_selectorIN6thrust23THRUST_200600_302600_NS5tupleIffNSC_9null_typeESE_SE_SE_SE_SE_SE_SE_EENS0_10empty_typeEEENS1_38merge_sort_block_merge_config_selectorISF_SG_EEEEvv
; %bb.0:
	s_endpgm
	.section	.rodata,"a",@progbits
	.p2align	6, 0x0
	.amdhsa_kernel _ZN7rocprim17ROCPRIM_400000_NS6detail44device_merge_sort_compile_time_verifier_archINS1_11comp_targetILNS1_3genE3ELNS1_11target_archE908ELNS1_3gpuE7ELNS1_3repE0EEES8_NS0_14default_configES9_NS1_37merge_sort_block_sort_config_selectorIN6thrust23THRUST_200600_302600_NS5tupleIffNSC_9null_typeESE_SE_SE_SE_SE_SE_SE_EENS0_10empty_typeEEENS1_38merge_sort_block_merge_config_selectorISF_SG_EEEEvv
		.amdhsa_group_segment_fixed_size 0
		.amdhsa_private_segment_fixed_size 0
		.amdhsa_kernarg_size 0
		.amdhsa_user_sgpr_count 0
		.amdhsa_user_sgpr_dispatch_ptr 0
		.amdhsa_user_sgpr_queue_ptr 0
		.amdhsa_user_sgpr_kernarg_segment_ptr 0
		.amdhsa_user_sgpr_dispatch_id 0
		.amdhsa_user_sgpr_kernarg_preload_length 0
		.amdhsa_user_sgpr_kernarg_preload_offset 0
		.amdhsa_user_sgpr_private_segment_size 0
		.amdhsa_uses_dynamic_stack 0
		.amdhsa_enable_private_segment 0
		.amdhsa_system_sgpr_workgroup_id_x 1
		.amdhsa_system_sgpr_workgroup_id_y 0
		.amdhsa_system_sgpr_workgroup_id_z 0
		.amdhsa_system_sgpr_workgroup_info 0
		.amdhsa_system_vgpr_workitem_id 0
		.amdhsa_next_free_vgpr 1
		.amdhsa_next_free_sgpr 0
		.amdhsa_accum_offset 4
		.amdhsa_reserve_vcc 0
		.amdhsa_float_round_mode_32 0
		.amdhsa_float_round_mode_16_64 0
		.amdhsa_float_denorm_mode_32 3
		.amdhsa_float_denorm_mode_16_64 3
		.amdhsa_dx10_clamp 1
		.amdhsa_ieee_mode 1
		.amdhsa_fp16_overflow 0
		.amdhsa_tg_split 0
		.amdhsa_exception_fp_ieee_invalid_op 0
		.amdhsa_exception_fp_denorm_src 0
		.amdhsa_exception_fp_ieee_div_zero 0
		.amdhsa_exception_fp_ieee_overflow 0
		.amdhsa_exception_fp_ieee_underflow 0
		.amdhsa_exception_fp_ieee_inexact 0
		.amdhsa_exception_int_div_zero 0
	.end_amdhsa_kernel
	.section	.text._ZN7rocprim17ROCPRIM_400000_NS6detail44device_merge_sort_compile_time_verifier_archINS1_11comp_targetILNS1_3genE3ELNS1_11target_archE908ELNS1_3gpuE7ELNS1_3repE0EEES8_NS0_14default_configES9_NS1_37merge_sort_block_sort_config_selectorIN6thrust23THRUST_200600_302600_NS5tupleIffNSC_9null_typeESE_SE_SE_SE_SE_SE_SE_EENS0_10empty_typeEEENS1_38merge_sort_block_merge_config_selectorISF_SG_EEEEvv,"axG",@progbits,_ZN7rocprim17ROCPRIM_400000_NS6detail44device_merge_sort_compile_time_verifier_archINS1_11comp_targetILNS1_3genE3ELNS1_11target_archE908ELNS1_3gpuE7ELNS1_3repE0EEES8_NS0_14default_configES9_NS1_37merge_sort_block_sort_config_selectorIN6thrust23THRUST_200600_302600_NS5tupleIffNSC_9null_typeESE_SE_SE_SE_SE_SE_SE_EENS0_10empty_typeEEENS1_38merge_sort_block_merge_config_selectorISF_SG_EEEEvv,comdat
.Lfunc_end11:
	.size	_ZN7rocprim17ROCPRIM_400000_NS6detail44device_merge_sort_compile_time_verifier_archINS1_11comp_targetILNS1_3genE3ELNS1_11target_archE908ELNS1_3gpuE7ELNS1_3repE0EEES8_NS0_14default_configES9_NS1_37merge_sort_block_sort_config_selectorIN6thrust23THRUST_200600_302600_NS5tupleIffNSC_9null_typeESE_SE_SE_SE_SE_SE_SE_EENS0_10empty_typeEEENS1_38merge_sort_block_merge_config_selectorISF_SG_EEEEvv, .Lfunc_end11-_ZN7rocprim17ROCPRIM_400000_NS6detail44device_merge_sort_compile_time_verifier_archINS1_11comp_targetILNS1_3genE3ELNS1_11target_archE908ELNS1_3gpuE7ELNS1_3repE0EEES8_NS0_14default_configES9_NS1_37merge_sort_block_sort_config_selectorIN6thrust23THRUST_200600_302600_NS5tupleIffNSC_9null_typeESE_SE_SE_SE_SE_SE_SE_EENS0_10empty_typeEEENS1_38merge_sort_block_merge_config_selectorISF_SG_EEEEvv
                                        ; -- End function
	.section	.AMDGPU.csdata,"",@progbits
; Kernel info:
; codeLenInByte = 4
; NumSgprs: 6
; NumVgprs: 0
; NumAgprs: 0
; TotalNumVgprs: 0
; ScratchSize: 0
; MemoryBound: 0
; FloatMode: 240
; IeeeMode: 1
; LDSByteSize: 0 bytes/workgroup (compile time only)
; SGPRBlocks: 0
; VGPRBlocks: 0
; NumSGPRsForWavesPerEU: 6
; NumVGPRsForWavesPerEU: 1
; AccumOffset: 4
; Occupancy: 8
; WaveLimiterHint : 0
; COMPUTE_PGM_RSRC2:SCRATCH_EN: 0
; COMPUTE_PGM_RSRC2:USER_SGPR: 0
; COMPUTE_PGM_RSRC2:TRAP_HANDLER: 0
; COMPUTE_PGM_RSRC2:TGID_X_EN: 1
; COMPUTE_PGM_RSRC2:TGID_Y_EN: 0
; COMPUTE_PGM_RSRC2:TGID_Z_EN: 0
; COMPUTE_PGM_RSRC2:TIDIG_COMP_CNT: 0
; COMPUTE_PGM_RSRC3_GFX90A:ACCUM_OFFSET: 0
; COMPUTE_PGM_RSRC3_GFX90A:TG_SPLIT: 0
	.section	.text._ZN7rocprim17ROCPRIM_400000_NS6detail44device_merge_sort_compile_time_verifier_archINS1_11comp_targetILNS1_3genE2ELNS1_11target_archE906ELNS1_3gpuE6ELNS1_3repE0EEES8_NS0_14default_configES9_NS1_37merge_sort_block_sort_config_selectorIN6thrust23THRUST_200600_302600_NS5tupleIffNSC_9null_typeESE_SE_SE_SE_SE_SE_SE_EENS0_10empty_typeEEENS1_38merge_sort_block_merge_config_selectorISF_SG_EEEEvv,"axG",@progbits,_ZN7rocprim17ROCPRIM_400000_NS6detail44device_merge_sort_compile_time_verifier_archINS1_11comp_targetILNS1_3genE2ELNS1_11target_archE906ELNS1_3gpuE6ELNS1_3repE0EEES8_NS0_14default_configES9_NS1_37merge_sort_block_sort_config_selectorIN6thrust23THRUST_200600_302600_NS5tupleIffNSC_9null_typeESE_SE_SE_SE_SE_SE_SE_EENS0_10empty_typeEEENS1_38merge_sort_block_merge_config_selectorISF_SG_EEEEvv,comdat
	.protected	_ZN7rocprim17ROCPRIM_400000_NS6detail44device_merge_sort_compile_time_verifier_archINS1_11comp_targetILNS1_3genE2ELNS1_11target_archE906ELNS1_3gpuE6ELNS1_3repE0EEES8_NS0_14default_configES9_NS1_37merge_sort_block_sort_config_selectorIN6thrust23THRUST_200600_302600_NS5tupleIffNSC_9null_typeESE_SE_SE_SE_SE_SE_SE_EENS0_10empty_typeEEENS1_38merge_sort_block_merge_config_selectorISF_SG_EEEEvv ; -- Begin function _ZN7rocprim17ROCPRIM_400000_NS6detail44device_merge_sort_compile_time_verifier_archINS1_11comp_targetILNS1_3genE2ELNS1_11target_archE906ELNS1_3gpuE6ELNS1_3repE0EEES8_NS0_14default_configES9_NS1_37merge_sort_block_sort_config_selectorIN6thrust23THRUST_200600_302600_NS5tupleIffNSC_9null_typeESE_SE_SE_SE_SE_SE_SE_EENS0_10empty_typeEEENS1_38merge_sort_block_merge_config_selectorISF_SG_EEEEvv
	.globl	_ZN7rocprim17ROCPRIM_400000_NS6detail44device_merge_sort_compile_time_verifier_archINS1_11comp_targetILNS1_3genE2ELNS1_11target_archE906ELNS1_3gpuE6ELNS1_3repE0EEES8_NS0_14default_configES9_NS1_37merge_sort_block_sort_config_selectorIN6thrust23THRUST_200600_302600_NS5tupleIffNSC_9null_typeESE_SE_SE_SE_SE_SE_SE_EENS0_10empty_typeEEENS1_38merge_sort_block_merge_config_selectorISF_SG_EEEEvv
	.p2align	8
	.type	_ZN7rocprim17ROCPRIM_400000_NS6detail44device_merge_sort_compile_time_verifier_archINS1_11comp_targetILNS1_3genE2ELNS1_11target_archE906ELNS1_3gpuE6ELNS1_3repE0EEES8_NS0_14default_configES9_NS1_37merge_sort_block_sort_config_selectorIN6thrust23THRUST_200600_302600_NS5tupleIffNSC_9null_typeESE_SE_SE_SE_SE_SE_SE_EENS0_10empty_typeEEENS1_38merge_sort_block_merge_config_selectorISF_SG_EEEEvv,@function
_ZN7rocprim17ROCPRIM_400000_NS6detail44device_merge_sort_compile_time_verifier_archINS1_11comp_targetILNS1_3genE2ELNS1_11target_archE906ELNS1_3gpuE6ELNS1_3repE0EEES8_NS0_14default_configES9_NS1_37merge_sort_block_sort_config_selectorIN6thrust23THRUST_200600_302600_NS5tupleIffNSC_9null_typeESE_SE_SE_SE_SE_SE_SE_EENS0_10empty_typeEEENS1_38merge_sort_block_merge_config_selectorISF_SG_EEEEvv: ; @_ZN7rocprim17ROCPRIM_400000_NS6detail44device_merge_sort_compile_time_verifier_archINS1_11comp_targetILNS1_3genE2ELNS1_11target_archE906ELNS1_3gpuE6ELNS1_3repE0EEES8_NS0_14default_configES9_NS1_37merge_sort_block_sort_config_selectorIN6thrust23THRUST_200600_302600_NS5tupleIffNSC_9null_typeESE_SE_SE_SE_SE_SE_SE_EENS0_10empty_typeEEENS1_38merge_sort_block_merge_config_selectorISF_SG_EEEEvv
; %bb.0:
	s_endpgm
	.section	.rodata,"a",@progbits
	.p2align	6, 0x0
	.amdhsa_kernel _ZN7rocprim17ROCPRIM_400000_NS6detail44device_merge_sort_compile_time_verifier_archINS1_11comp_targetILNS1_3genE2ELNS1_11target_archE906ELNS1_3gpuE6ELNS1_3repE0EEES8_NS0_14default_configES9_NS1_37merge_sort_block_sort_config_selectorIN6thrust23THRUST_200600_302600_NS5tupleIffNSC_9null_typeESE_SE_SE_SE_SE_SE_SE_EENS0_10empty_typeEEENS1_38merge_sort_block_merge_config_selectorISF_SG_EEEEvv
		.amdhsa_group_segment_fixed_size 0
		.amdhsa_private_segment_fixed_size 0
		.amdhsa_kernarg_size 0
		.amdhsa_user_sgpr_count 0
		.amdhsa_user_sgpr_dispatch_ptr 0
		.amdhsa_user_sgpr_queue_ptr 0
		.amdhsa_user_sgpr_kernarg_segment_ptr 0
		.amdhsa_user_sgpr_dispatch_id 0
		.amdhsa_user_sgpr_kernarg_preload_length 0
		.amdhsa_user_sgpr_kernarg_preload_offset 0
		.amdhsa_user_sgpr_private_segment_size 0
		.amdhsa_uses_dynamic_stack 0
		.amdhsa_enable_private_segment 0
		.amdhsa_system_sgpr_workgroup_id_x 1
		.amdhsa_system_sgpr_workgroup_id_y 0
		.amdhsa_system_sgpr_workgroup_id_z 0
		.amdhsa_system_sgpr_workgroup_info 0
		.amdhsa_system_vgpr_workitem_id 0
		.amdhsa_next_free_vgpr 1
		.amdhsa_next_free_sgpr 0
		.amdhsa_accum_offset 4
		.amdhsa_reserve_vcc 0
		.amdhsa_float_round_mode_32 0
		.amdhsa_float_round_mode_16_64 0
		.amdhsa_float_denorm_mode_32 3
		.amdhsa_float_denorm_mode_16_64 3
		.amdhsa_dx10_clamp 1
		.amdhsa_ieee_mode 1
		.amdhsa_fp16_overflow 0
		.amdhsa_tg_split 0
		.amdhsa_exception_fp_ieee_invalid_op 0
		.amdhsa_exception_fp_denorm_src 0
		.amdhsa_exception_fp_ieee_div_zero 0
		.amdhsa_exception_fp_ieee_overflow 0
		.amdhsa_exception_fp_ieee_underflow 0
		.amdhsa_exception_fp_ieee_inexact 0
		.amdhsa_exception_int_div_zero 0
	.end_amdhsa_kernel
	.section	.text._ZN7rocprim17ROCPRIM_400000_NS6detail44device_merge_sort_compile_time_verifier_archINS1_11comp_targetILNS1_3genE2ELNS1_11target_archE906ELNS1_3gpuE6ELNS1_3repE0EEES8_NS0_14default_configES9_NS1_37merge_sort_block_sort_config_selectorIN6thrust23THRUST_200600_302600_NS5tupleIffNSC_9null_typeESE_SE_SE_SE_SE_SE_SE_EENS0_10empty_typeEEENS1_38merge_sort_block_merge_config_selectorISF_SG_EEEEvv,"axG",@progbits,_ZN7rocprim17ROCPRIM_400000_NS6detail44device_merge_sort_compile_time_verifier_archINS1_11comp_targetILNS1_3genE2ELNS1_11target_archE906ELNS1_3gpuE6ELNS1_3repE0EEES8_NS0_14default_configES9_NS1_37merge_sort_block_sort_config_selectorIN6thrust23THRUST_200600_302600_NS5tupleIffNSC_9null_typeESE_SE_SE_SE_SE_SE_SE_EENS0_10empty_typeEEENS1_38merge_sort_block_merge_config_selectorISF_SG_EEEEvv,comdat
.Lfunc_end12:
	.size	_ZN7rocprim17ROCPRIM_400000_NS6detail44device_merge_sort_compile_time_verifier_archINS1_11comp_targetILNS1_3genE2ELNS1_11target_archE906ELNS1_3gpuE6ELNS1_3repE0EEES8_NS0_14default_configES9_NS1_37merge_sort_block_sort_config_selectorIN6thrust23THRUST_200600_302600_NS5tupleIffNSC_9null_typeESE_SE_SE_SE_SE_SE_SE_EENS0_10empty_typeEEENS1_38merge_sort_block_merge_config_selectorISF_SG_EEEEvv, .Lfunc_end12-_ZN7rocprim17ROCPRIM_400000_NS6detail44device_merge_sort_compile_time_verifier_archINS1_11comp_targetILNS1_3genE2ELNS1_11target_archE906ELNS1_3gpuE6ELNS1_3repE0EEES8_NS0_14default_configES9_NS1_37merge_sort_block_sort_config_selectorIN6thrust23THRUST_200600_302600_NS5tupleIffNSC_9null_typeESE_SE_SE_SE_SE_SE_SE_EENS0_10empty_typeEEENS1_38merge_sort_block_merge_config_selectorISF_SG_EEEEvv
                                        ; -- End function
	.section	.AMDGPU.csdata,"",@progbits
; Kernel info:
; codeLenInByte = 4
; NumSgprs: 6
; NumVgprs: 0
; NumAgprs: 0
; TotalNumVgprs: 0
; ScratchSize: 0
; MemoryBound: 0
; FloatMode: 240
; IeeeMode: 1
; LDSByteSize: 0 bytes/workgroup (compile time only)
; SGPRBlocks: 0
; VGPRBlocks: 0
; NumSGPRsForWavesPerEU: 6
; NumVGPRsForWavesPerEU: 1
; AccumOffset: 4
; Occupancy: 8
; WaveLimiterHint : 0
; COMPUTE_PGM_RSRC2:SCRATCH_EN: 0
; COMPUTE_PGM_RSRC2:USER_SGPR: 0
; COMPUTE_PGM_RSRC2:TRAP_HANDLER: 0
; COMPUTE_PGM_RSRC2:TGID_X_EN: 1
; COMPUTE_PGM_RSRC2:TGID_Y_EN: 0
; COMPUTE_PGM_RSRC2:TGID_Z_EN: 0
; COMPUTE_PGM_RSRC2:TIDIG_COMP_CNT: 0
; COMPUTE_PGM_RSRC3_GFX90A:ACCUM_OFFSET: 0
; COMPUTE_PGM_RSRC3_GFX90A:TG_SPLIT: 0
	.section	.text._ZN7rocprim17ROCPRIM_400000_NS6detail44device_merge_sort_compile_time_verifier_archINS1_11comp_targetILNS1_3genE10ELNS1_11target_archE1201ELNS1_3gpuE5ELNS1_3repE0EEES8_NS0_14default_configES9_NS1_37merge_sort_block_sort_config_selectorIN6thrust23THRUST_200600_302600_NS5tupleIffNSC_9null_typeESE_SE_SE_SE_SE_SE_SE_EENS0_10empty_typeEEENS1_38merge_sort_block_merge_config_selectorISF_SG_EEEEvv,"axG",@progbits,_ZN7rocprim17ROCPRIM_400000_NS6detail44device_merge_sort_compile_time_verifier_archINS1_11comp_targetILNS1_3genE10ELNS1_11target_archE1201ELNS1_3gpuE5ELNS1_3repE0EEES8_NS0_14default_configES9_NS1_37merge_sort_block_sort_config_selectorIN6thrust23THRUST_200600_302600_NS5tupleIffNSC_9null_typeESE_SE_SE_SE_SE_SE_SE_EENS0_10empty_typeEEENS1_38merge_sort_block_merge_config_selectorISF_SG_EEEEvv,comdat
	.protected	_ZN7rocprim17ROCPRIM_400000_NS6detail44device_merge_sort_compile_time_verifier_archINS1_11comp_targetILNS1_3genE10ELNS1_11target_archE1201ELNS1_3gpuE5ELNS1_3repE0EEES8_NS0_14default_configES9_NS1_37merge_sort_block_sort_config_selectorIN6thrust23THRUST_200600_302600_NS5tupleIffNSC_9null_typeESE_SE_SE_SE_SE_SE_SE_EENS0_10empty_typeEEENS1_38merge_sort_block_merge_config_selectorISF_SG_EEEEvv ; -- Begin function _ZN7rocprim17ROCPRIM_400000_NS6detail44device_merge_sort_compile_time_verifier_archINS1_11comp_targetILNS1_3genE10ELNS1_11target_archE1201ELNS1_3gpuE5ELNS1_3repE0EEES8_NS0_14default_configES9_NS1_37merge_sort_block_sort_config_selectorIN6thrust23THRUST_200600_302600_NS5tupleIffNSC_9null_typeESE_SE_SE_SE_SE_SE_SE_EENS0_10empty_typeEEENS1_38merge_sort_block_merge_config_selectorISF_SG_EEEEvv
	.globl	_ZN7rocprim17ROCPRIM_400000_NS6detail44device_merge_sort_compile_time_verifier_archINS1_11comp_targetILNS1_3genE10ELNS1_11target_archE1201ELNS1_3gpuE5ELNS1_3repE0EEES8_NS0_14default_configES9_NS1_37merge_sort_block_sort_config_selectorIN6thrust23THRUST_200600_302600_NS5tupleIffNSC_9null_typeESE_SE_SE_SE_SE_SE_SE_EENS0_10empty_typeEEENS1_38merge_sort_block_merge_config_selectorISF_SG_EEEEvv
	.p2align	8
	.type	_ZN7rocprim17ROCPRIM_400000_NS6detail44device_merge_sort_compile_time_verifier_archINS1_11comp_targetILNS1_3genE10ELNS1_11target_archE1201ELNS1_3gpuE5ELNS1_3repE0EEES8_NS0_14default_configES9_NS1_37merge_sort_block_sort_config_selectorIN6thrust23THRUST_200600_302600_NS5tupleIffNSC_9null_typeESE_SE_SE_SE_SE_SE_SE_EENS0_10empty_typeEEENS1_38merge_sort_block_merge_config_selectorISF_SG_EEEEvv,@function
_ZN7rocprim17ROCPRIM_400000_NS6detail44device_merge_sort_compile_time_verifier_archINS1_11comp_targetILNS1_3genE10ELNS1_11target_archE1201ELNS1_3gpuE5ELNS1_3repE0EEES8_NS0_14default_configES9_NS1_37merge_sort_block_sort_config_selectorIN6thrust23THRUST_200600_302600_NS5tupleIffNSC_9null_typeESE_SE_SE_SE_SE_SE_SE_EENS0_10empty_typeEEENS1_38merge_sort_block_merge_config_selectorISF_SG_EEEEvv: ; @_ZN7rocprim17ROCPRIM_400000_NS6detail44device_merge_sort_compile_time_verifier_archINS1_11comp_targetILNS1_3genE10ELNS1_11target_archE1201ELNS1_3gpuE5ELNS1_3repE0EEES8_NS0_14default_configES9_NS1_37merge_sort_block_sort_config_selectorIN6thrust23THRUST_200600_302600_NS5tupleIffNSC_9null_typeESE_SE_SE_SE_SE_SE_SE_EENS0_10empty_typeEEENS1_38merge_sort_block_merge_config_selectorISF_SG_EEEEvv
; %bb.0:
	s_endpgm
	.section	.rodata,"a",@progbits
	.p2align	6, 0x0
	.amdhsa_kernel _ZN7rocprim17ROCPRIM_400000_NS6detail44device_merge_sort_compile_time_verifier_archINS1_11comp_targetILNS1_3genE10ELNS1_11target_archE1201ELNS1_3gpuE5ELNS1_3repE0EEES8_NS0_14default_configES9_NS1_37merge_sort_block_sort_config_selectorIN6thrust23THRUST_200600_302600_NS5tupleIffNSC_9null_typeESE_SE_SE_SE_SE_SE_SE_EENS0_10empty_typeEEENS1_38merge_sort_block_merge_config_selectorISF_SG_EEEEvv
		.amdhsa_group_segment_fixed_size 0
		.amdhsa_private_segment_fixed_size 0
		.amdhsa_kernarg_size 0
		.amdhsa_user_sgpr_count 0
		.amdhsa_user_sgpr_dispatch_ptr 0
		.amdhsa_user_sgpr_queue_ptr 0
		.amdhsa_user_sgpr_kernarg_segment_ptr 0
		.amdhsa_user_sgpr_dispatch_id 0
		.amdhsa_user_sgpr_kernarg_preload_length 0
		.amdhsa_user_sgpr_kernarg_preload_offset 0
		.amdhsa_user_sgpr_private_segment_size 0
		.amdhsa_uses_dynamic_stack 0
		.amdhsa_enable_private_segment 0
		.amdhsa_system_sgpr_workgroup_id_x 1
		.amdhsa_system_sgpr_workgroup_id_y 0
		.amdhsa_system_sgpr_workgroup_id_z 0
		.amdhsa_system_sgpr_workgroup_info 0
		.amdhsa_system_vgpr_workitem_id 0
		.amdhsa_next_free_vgpr 1
		.amdhsa_next_free_sgpr 0
		.amdhsa_accum_offset 4
		.amdhsa_reserve_vcc 0
		.amdhsa_float_round_mode_32 0
		.amdhsa_float_round_mode_16_64 0
		.amdhsa_float_denorm_mode_32 3
		.amdhsa_float_denorm_mode_16_64 3
		.amdhsa_dx10_clamp 1
		.amdhsa_ieee_mode 1
		.amdhsa_fp16_overflow 0
		.amdhsa_tg_split 0
		.amdhsa_exception_fp_ieee_invalid_op 0
		.amdhsa_exception_fp_denorm_src 0
		.amdhsa_exception_fp_ieee_div_zero 0
		.amdhsa_exception_fp_ieee_overflow 0
		.amdhsa_exception_fp_ieee_underflow 0
		.amdhsa_exception_fp_ieee_inexact 0
		.amdhsa_exception_int_div_zero 0
	.end_amdhsa_kernel
	.section	.text._ZN7rocprim17ROCPRIM_400000_NS6detail44device_merge_sort_compile_time_verifier_archINS1_11comp_targetILNS1_3genE10ELNS1_11target_archE1201ELNS1_3gpuE5ELNS1_3repE0EEES8_NS0_14default_configES9_NS1_37merge_sort_block_sort_config_selectorIN6thrust23THRUST_200600_302600_NS5tupleIffNSC_9null_typeESE_SE_SE_SE_SE_SE_SE_EENS0_10empty_typeEEENS1_38merge_sort_block_merge_config_selectorISF_SG_EEEEvv,"axG",@progbits,_ZN7rocprim17ROCPRIM_400000_NS6detail44device_merge_sort_compile_time_verifier_archINS1_11comp_targetILNS1_3genE10ELNS1_11target_archE1201ELNS1_3gpuE5ELNS1_3repE0EEES8_NS0_14default_configES9_NS1_37merge_sort_block_sort_config_selectorIN6thrust23THRUST_200600_302600_NS5tupleIffNSC_9null_typeESE_SE_SE_SE_SE_SE_SE_EENS0_10empty_typeEEENS1_38merge_sort_block_merge_config_selectorISF_SG_EEEEvv,comdat
.Lfunc_end13:
	.size	_ZN7rocprim17ROCPRIM_400000_NS6detail44device_merge_sort_compile_time_verifier_archINS1_11comp_targetILNS1_3genE10ELNS1_11target_archE1201ELNS1_3gpuE5ELNS1_3repE0EEES8_NS0_14default_configES9_NS1_37merge_sort_block_sort_config_selectorIN6thrust23THRUST_200600_302600_NS5tupleIffNSC_9null_typeESE_SE_SE_SE_SE_SE_SE_EENS0_10empty_typeEEENS1_38merge_sort_block_merge_config_selectorISF_SG_EEEEvv, .Lfunc_end13-_ZN7rocprim17ROCPRIM_400000_NS6detail44device_merge_sort_compile_time_verifier_archINS1_11comp_targetILNS1_3genE10ELNS1_11target_archE1201ELNS1_3gpuE5ELNS1_3repE0EEES8_NS0_14default_configES9_NS1_37merge_sort_block_sort_config_selectorIN6thrust23THRUST_200600_302600_NS5tupleIffNSC_9null_typeESE_SE_SE_SE_SE_SE_SE_EENS0_10empty_typeEEENS1_38merge_sort_block_merge_config_selectorISF_SG_EEEEvv
                                        ; -- End function
	.section	.AMDGPU.csdata,"",@progbits
; Kernel info:
; codeLenInByte = 4
; NumSgprs: 6
; NumVgprs: 0
; NumAgprs: 0
; TotalNumVgprs: 0
; ScratchSize: 0
; MemoryBound: 0
; FloatMode: 240
; IeeeMode: 1
; LDSByteSize: 0 bytes/workgroup (compile time only)
; SGPRBlocks: 0
; VGPRBlocks: 0
; NumSGPRsForWavesPerEU: 6
; NumVGPRsForWavesPerEU: 1
; AccumOffset: 4
; Occupancy: 8
; WaveLimiterHint : 0
; COMPUTE_PGM_RSRC2:SCRATCH_EN: 0
; COMPUTE_PGM_RSRC2:USER_SGPR: 0
; COMPUTE_PGM_RSRC2:TRAP_HANDLER: 0
; COMPUTE_PGM_RSRC2:TGID_X_EN: 1
; COMPUTE_PGM_RSRC2:TGID_Y_EN: 0
; COMPUTE_PGM_RSRC2:TGID_Z_EN: 0
; COMPUTE_PGM_RSRC2:TIDIG_COMP_CNT: 0
; COMPUTE_PGM_RSRC3_GFX90A:ACCUM_OFFSET: 0
; COMPUTE_PGM_RSRC3_GFX90A:TG_SPLIT: 0
	.section	.text._ZN7rocprim17ROCPRIM_400000_NS6detail44device_merge_sort_compile_time_verifier_archINS1_11comp_targetILNS1_3genE10ELNS1_11target_archE1200ELNS1_3gpuE4ELNS1_3repE0EEENS3_ILS4_10ELS5_1201ELS6_5ELS7_0EEENS0_14default_configESA_NS1_37merge_sort_block_sort_config_selectorIN6thrust23THRUST_200600_302600_NS5tupleIffNSD_9null_typeESF_SF_SF_SF_SF_SF_SF_EENS0_10empty_typeEEENS1_38merge_sort_block_merge_config_selectorISG_SH_EEEEvv,"axG",@progbits,_ZN7rocprim17ROCPRIM_400000_NS6detail44device_merge_sort_compile_time_verifier_archINS1_11comp_targetILNS1_3genE10ELNS1_11target_archE1200ELNS1_3gpuE4ELNS1_3repE0EEENS3_ILS4_10ELS5_1201ELS6_5ELS7_0EEENS0_14default_configESA_NS1_37merge_sort_block_sort_config_selectorIN6thrust23THRUST_200600_302600_NS5tupleIffNSD_9null_typeESF_SF_SF_SF_SF_SF_SF_EENS0_10empty_typeEEENS1_38merge_sort_block_merge_config_selectorISG_SH_EEEEvv,comdat
	.protected	_ZN7rocprim17ROCPRIM_400000_NS6detail44device_merge_sort_compile_time_verifier_archINS1_11comp_targetILNS1_3genE10ELNS1_11target_archE1200ELNS1_3gpuE4ELNS1_3repE0EEENS3_ILS4_10ELS5_1201ELS6_5ELS7_0EEENS0_14default_configESA_NS1_37merge_sort_block_sort_config_selectorIN6thrust23THRUST_200600_302600_NS5tupleIffNSD_9null_typeESF_SF_SF_SF_SF_SF_SF_EENS0_10empty_typeEEENS1_38merge_sort_block_merge_config_selectorISG_SH_EEEEvv ; -- Begin function _ZN7rocprim17ROCPRIM_400000_NS6detail44device_merge_sort_compile_time_verifier_archINS1_11comp_targetILNS1_3genE10ELNS1_11target_archE1200ELNS1_3gpuE4ELNS1_3repE0EEENS3_ILS4_10ELS5_1201ELS6_5ELS7_0EEENS0_14default_configESA_NS1_37merge_sort_block_sort_config_selectorIN6thrust23THRUST_200600_302600_NS5tupleIffNSD_9null_typeESF_SF_SF_SF_SF_SF_SF_EENS0_10empty_typeEEENS1_38merge_sort_block_merge_config_selectorISG_SH_EEEEvv
	.globl	_ZN7rocprim17ROCPRIM_400000_NS6detail44device_merge_sort_compile_time_verifier_archINS1_11comp_targetILNS1_3genE10ELNS1_11target_archE1200ELNS1_3gpuE4ELNS1_3repE0EEENS3_ILS4_10ELS5_1201ELS6_5ELS7_0EEENS0_14default_configESA_NS1_37merge_sort_block_sort_config_selectorIN6thrust23THRUST_200600_302600_NS5tupleIffNSD_9null_typeESF_SF_SF_SF_SF_SF_SF_EENS0_10empty_typeEEENS1_38merge_sort_block_merge_config_selectorISG_SH_EEEEvv
	.p2align	8
	.type	_ZN7rocprim17ROCPRIM_400000_NS6detail44device_merge_sort_compile_time_verifier_archINS1_11comp_targetILNS1_3genE10ELNS1_11target_archE1200ELNS1_3gpuE4ELNS1_3repE0EEENS3_ILS4_10ELS5_1201ELS6_5ELS7_0EEENS0_14default_configESA_NS1_37merge_sort_block_sort_config_selectorIN6thrust23THRUST_200600_302600_NS5tupleIffNSD_9null_typeESF_SF_SF_SF_SF_SF_SF_EENS0_10empty_typeEEENS1_38merge_sort_block_merge_config_selectorISG_SH_EEEEvv,@function
_ZN7rocprim17ROCPRIM_400000_NS6detail44device_merge_sort_compile_time_verifier_archINS1_11comp_targetILNS1_3genE10ELNS1_11target_archE1200ELNS1_3gpuE4ELNS1_3repE0EEENS3_ILS4_10ELS5_1201ELS6_5ELS7_0EEENS0_14default_configESA_NS1_37merge_sort_block_sort_config_selectorIN6thrust23THRUST_200600_302600_NS5tupleIffNSD_9null_typeESF_SF_SF_SF_SF_SF_SF_EENS0_10empty_typeEEENS1_38merge_sort_block_merge_config_selectorISG_SH_EEEEvv: ; @_ZN7rocprim17ROCPRIM_400000_NS6detail44device_merge_sort_compile_time_verifier_archINS1_11comp_targetILNS1_3genE10ELNS1_11target_archE1200ELNS1_3gpuE4ELNS1_3repE0EEENS3_ILS4_10ELS5_1201ELS6_5ELS7_0EEENS0_14default_configESA_NS1_37merge_sort_block_sort_config_selectorIN6thrust23THRUST_200600_302600_NS5tupleIffNSD_9null_typeESF_SF_SF_SF_SF_SF_SF_EENS0_10empty_typeEEENS1_38merge_sort_block_merge_config_selectorISG_SH_EEEEvv
; %bb.0:
	s_endpgm
	.section	.rodata,"a",@progbits
	.p2align	6, 0x0
	.amdhsa_kernel _ZN7rocprim17ROCPRIM_400000_NS6detail44device_merge_sort_compile_time_verifier_archINS1_11comp_targetILNS1_3genE10ELNS1_11target_archE1200ELNS1_3gpuE4ELNS1_3repE0EEENS3_ILS4_10ELS5_1201ELS6_5ELS7_0EEENS0_14default_configESA_NS1_37merge_sort_block_sort_config_selectorIN6thrust23THRUST_200600_302600_NS5tupleIffNSD_9null_typeESF_SF_SF_SF_SF_SF_SF_EENS0_10empty_typeEEENS1_38merge_sort_block_merge_config_selectorISG_SH_EEEEvv
		.amdhsa_group_segment_fixed_size 0
		.amdhsa_private_segment_fixed_size 0
		.amdhsa_kernarg_size 0
		.amdhsa_user_sgpr_count 0
		.amdhsa_user_sgpr_dispatch_ptr 0
		.amdhsa_user_sgpr_queue_ptr 0
		.amdhsa_user_sgpr_kernarg_segment_ptr 0
		.amdhsa_user_sgpr_dispatch_id 0
		.amdhsa_user_sgpr_kernarg_preload_length 0
		.amdhsa_user_sgpr_kernarg_preload_offset 0
		.amdhsa_user_sgpr_private_segment_size 0
		.amdhsa_uses_dynamic_stack 0
		.amdhsa_enable_private_segment 0
		.amdhsa_system_sgpr_workgroup_id_x 1
		.amdhsa_system_sgpr_workgroup_id_y 0
		.amdhsa_system_sgpr_workgroup_id_z 0
		.amdhsa_system_sgpr_workgroup_info 0
		.amdhsa_system_vgpr_workitem_id 0
		.amdhsa_next_free_vgpr 1
		.amdhsa_next_free_sgpr 0
		.amdhsa_accum_offset 4
		.amdhsa_reserve_vcc 0
		.amdhsa_float_round_mode_32 0
		.amdhsa_float_round_mode_16_64 0
		.amdhsa_float_denorm_mode_32 3
		.amdhsa_float_denorm_mode_16_64 3
		.amdhsa_dx10_clamp 1
		.amdhsa_ieee_mode 1
		.amdhsa_fp16_overflow 0
		.amdhsa_tg_split 0
		.amdhsa_exception_fp_ieee_invalid_op 0
		.amdhsa_exception_fp_denorm_src 0
		.amdhsa_exception_fp_ieee_div_zero 0
		.amdhsa_exception_fp_ieee_overflow 0
		.amdhsa_exception_fp_ieee_underflow 0
		.amdhsa_exception_fp_ieee_inexact 0
		.amdhsa_exception_int_div_zero 0
	.end_amdhsa_kernel
	.section	.text._ZN7rocprim17ROCPRIM_400000_NS6detail44device_merge_sort_compile_time_verifier_archINS1_11comp_targetILNS1_3genE10ELNS1_11target_archE1200ELNS1_3gpuE4ELNS1_3repE0EEENS3_ILS4_10ELS5_1201ELS6_5ELS7_0EEENS0_14default_configESA_NS1_37merge_sort_block_sort_config_selectorIN6thrust23THRUST_200600_302600_NS5tupleIffNSD_9null_typeESF_SF_SF_SF_SF_SF_SF_EENS0_10empty_typeEEENS1_38merge_sort_block_merge_config_selectorISG_SH_EEEEvv,"axG",@progbits,_ZN7rocprim17ROCPRIM_400000_NS6detail44device_merge_sort_compile_time_verifier_archINS1_11comp_targetILNS1_3genE10ELNS1_11target_archE1200ELNS1_3gpuE4ELNS1_3repE0EEENS3_ILS4_10ELS5_1201ELS6_5ELS7_0EEENS0_14default_configESA_NS1_37merge_sort_block_sort_config_selectorIN6thrust23THRUST_200600_302600_NS5tupleIffNSD_9null_typeESF_SF_SF_SF_SF_SF_SF_EENS0_10empty_typeEEENS1_38merge_sort_block_merge_config_selectorISG_SH_EEEEvv,comdat
.Lfunc_end14:
	.size	_ZN7rocprim17ROCPRIM_400000_NS6detail44device_merge_sort_compile_time_verifier_archINS1_11comp_targetILNS1_3genE10ELNS1_11target_archE1200ELNS1_3gpuE4ELNS1_3repE0EEENS3_ILS4_10ELS5_1201ELS6_5ELS7_0EEENS0_14default_configESA_NS1_37merge_sort_block_sort_config_selectorIN6thrust23THRUST_200600_302600_NS5tupleIffNSD_9null_typeESF_SF_SF_SF_SF_SF_SF_EENS0_10empty_typeEEENS1_38merge_sort_block_merge_config_selectorISG_SH_EEEEvv, .Lfunc_end14-_ZN7rocprim17ROCPRIM_400000_NS6detail44device_merge_sort_compile_time_verifier_archINS1_11comp_targetILNS1_3genE10ELNS1_11target_archE1200ELNS1_3gpuE4ELNS1_3repE0EEENS3_ILS4_10ELS5_1201ELS6_5ELS7_0EEENS0_14default_configESA_NS1_37merge_sort_block_sort_config_selectorIN6thrust23THRUST_200600_302600_NS5tupleIffNSD_9null_typeESF_SF_SF_SF_SF_SF_SF_EENS0_10empty_typeEEENS1_38merge_sort_block_merge_config_selectorISG_SH_EEEEvv
                                        ; -- End function
	.section	.AMDGPU.csdata,"",@progbits
; Kernel info:
; codeLenInByte = 4
; NumSgprs: 6
; NumVgprs: 0
; NumAgprs: 0
; TotalNumVgprs: 0
; ScratchSize: 0
; MemoryBound: 0
; FloatMode: 240
; IeeeMode: 1
; LDSByteSize: 0 bytes/workgroup (compile time only)
; SGPRBlocks: 0
; VGPRBlocks: 0
; NumSGPRsForWavesPerEU: 6
; NumVGPRsForWavesPerEU: 1
; AccumOffset: 4
; Occupancy: 8
; WaveLimiterHint : 0
; COMPUTE_PGM_RSRC2:SCRATCH_EN: 0
; COMPUTE_PGM_RSRC2:USER_SGPR: 0
; COMPUTE_PGM_RSRC2:TRAP_HANDLER: 0
; COMPUTE_PGM_RSRC2:TGID_X_EN: 1
; COMPUTE_PGM_RSRC2:TGID_Y_EN: 0
; COMPUTE_PGM_RSRC2:TGID_Z_EN: 0
; COMPUTE_PGM_RSRC2:TIDIG_COMP_CNT: 0
; COMPUTE_PGM_RSRC3_GFX90A:ACCUM_OFFSET: 0
; COMPUTE_PGM_RSRC3_GFX90A:TG_SPLIT: 0
	.section	.text._ZN7rocprim17ROCPRIM_400000_NS6detail44device_merge_sort_compile_time_verifier_archINS1_11comp_targetILNS1_3genE9ELNS1_11target_archE1100ELNS1_3gpuE3ELNS1_3repE0EEES8_NS0_14default_configES9_NS1_37merge_sort_block_sort_config_selectorIN6thrust23THRUST_200600_302600_NS5tupleIffNSC_9null_typeESE_SE_SE_SE_SE_SE_SE_EENS0_10empty_typeEEENS1_38merge_sort_block_merge_config_selectorISF_SG_EEEEvv,"axG",@progbits,_ZN7rocprim17ROCPRIM_400000_NS6detail44device_merge_sort_compile_time_verifier_archINS1_11comp_targetILNS1_3genE9ELNS1_11target_archE1100ELNS1_3gpuE3ELNS1_3repE0EEES8_NS0_14default_configES9_NS1_37merge_sort_block_sort_config_selectorIN6thrust23THRUST_200600_302600_NS5tupleIffNSC_9null_typeESE_SE_SE_SE_SE_SE_SE_EENS0_10empty_typeEEENS1_38merge_sort_block_merge_config_selectorISF_SG_EEEEvv,comdat
	.protected	_ZN7rocprim17ROCPRIM_400000_NS6detail44device_merge_sort_compile_time_verifier_archINS1_11comp_targetILNS1_3genE9ELNS1_11target_archE1100ELNS1_3gpuE3ELNS1_3repE0EEES8_NS0_14default_configES9_NS1_37merge_sort_block_sort_config_selectorIN6thrust23THRUST_200600_302600_NS5tupleIffNSC_9null_typeESE_SE_SE_SE_SE_SE_SE_EENS0_10empty_typeEEENS1_38merge_sort_block_merge_config_selectorISF_SG_EEEEvv ; -- Begin function _ZN7rocprim17ROCPRIM_400000_NS6detail44device_merge_sort_compile_time_verifier_archINS1_11comp_targetILNS1_3genE9ELNS1_11target_archE1100ELNS1_3gpuE3ELNS1_3repE0EEES8_NS0_14default_configES9_NS1_37merge_sort_block_sort_config_selectorIN6thrust23THRUST_200600_302600_NS5tupleIffNSC_9null_typeESE_SE_SE_SE_SE_SE_SE_EENS0_10empty_typeEEENS1_38merge_sort_block_merge_config_selectorISF_SG_EEEEvv
	.globl	_ZN7rocprim17ROCPRIM_400000_NS6detail44device_merge_sort_compile_time_verifier_archINS1_11comp_targetILNS1_3genE9ELNS1_11target_archE1100ELNS1_3gpuE3ELNS1_3repE0EEES8_NS0_14default_configES9_NS1_37merge_sort_block_sort_config_selectorIN6thrust23THRUST_200600_302600_NS5tupleIffNSC_9null_typeESE_SE_SE_SE_SE_SE_SE_EENS0_10empty_typeEEENS1_38merge_sort_block_merge_config_selectorISF_SG_EEEEvv
	.p2align	8
	.type	_ZN7rocprim17ROCPRIM_400000_NS6detail44device_merge_sort_compile_time_verifier_archINS1_11comp_targetILNS1_3genE9ELNS1_11target_archE1100ELNS1_3gpuE3ELNS1_3repE0EEES8_NS0_14default_configES9_NS1_37merge_sort_block_sort_config_selectorIN6thrust23THRUST_200600_302600_NS5tupleIffNSC_9null_typeESE_SE_SE_SE_SE_SE_SE_EENS0_10empty_typeEEENS1_38merge_sort_block_merge_config_selectorISF_SG_EEEEvv,@function
_ZN7rocprim17ROCPRIM_400000_NS6detail44device_merge_sort_compile_time_verifier_archINS1_11comp_targetILNS1_3genE9ELNS1_11target_archE1100ELNS1_3gpuE3ELNS1_3repE0EEES8_NS0_14default_configES9_NS1_37merge_sort_block_sort_config_selectorIN6thrust23THRUST_200600_302600_NS5tupleIffNSC_9null_typeESE_SE_SE_SE_SE_SE_SE_EENS0_10empty_typeEEENS1_38merge_sort_block_merge_config_selectorISF_SG_EEEEvv: ; @_ZN7rocprim17ROCPRIM_400000_NS6detail44device_merge_sort_compile_time_verifier_archINS1_11comp_targetILNS1_3genE9ELNS1_11target_archE1100ELNS1_3gpuE3ELNS1_3repE0EEES8_NS0_14default_configES9_NS1_37merge_sort_block_sort_config_selectorIN6thrust23THRUST_200600_302600_NS5tupleIffNSC_9null_typeESE_SE_SE_SE_SE_SE_SE_EENS0_10empty_typeEEENS1_38merge_sort_block_merge_config_selectorISF_SG_EEEEvv
; %bb.0:
	s_endpgm
	.section	.rodata,"a",@progbits
	.p2align	6, 0x0
	.amdhsa_kernel _ZN7rocprim17ROCPRIM_400000_NS6detail44device_merge_sort_compile_time_verifier_archINS1_11comp_targetILNS1_3genE9ELNS1_11target_archE1100ELNS1_3gpuE3ELNS1_3repE0EEES8_NS0_14default_configES9_NS1_37merge_sort_block_sort_config_selectorIN6thrust23THRUST_200600_302600_NS5tupleIffNSC_9null_typeESE_SE_SE_SE_SE_SE_SE_EENS0_10empty_typeEEENS1_38merge_sort_block_merge_config_selectorISF_SG_EEEEvv
		.amdhsa_group_segment_fixed_size 0
		.amdhsa_private_segment_fixed_size 0
		.amdhsa_kernarg_size 0
		.amdhsa_user_sgpr_count 0
		.amdhsa_user_sgpr_dispatch_ptr 0
		.amdhsa_user_sgpr_queue_ptr 0
		.amdhsa_user_sgpr_kernarg_segment_ptr 0
		.amdhsa_user_sgpr_dispatch_id 0
		.amdhsa_user_sgpr_kernarg_preload_length 0
		.amdhsa_user_sgpr_kernarg_preload_offset 0
		.amdhsa_user_sgpr_private_segment_size 0
		.amdhsa_uses_dynamic_stack 0
		.amdhsa_enable_private_segment 0
		.amdhsa_system_sgpr_workgroup_id_x 1
		.amdhsa_system_sgpr_workgroup_id_y 0
		.amdhsa_system_sgpr_workgroup_id_z 0
		.amdhsa_system_sgpr_workgroup_info 0
		.amdhsa_system_vgpr_workitem_id 0
		.amdhsa_next_free_vgpr 1
		.amdhsa_next_free_sgpr 0
		.amdhsa_accum_offset 4
		.amdhsa_reserve_vcc 0
		.amdhsa_float_round_mode_32 0
		.amdhsa_float_round_mode_16_64 0
		.amdhsa_float_denorm_mode_32 3
		.amdhsa_float_denorm_mode_16_64 3
		.amdhsa_dx10_clamp 1
		.amdhsa_ieee_mode 1
		.amdhsa_fp16_overflow 0
		.amdhsa_tg_split 0
		.amdhsa_exception_fp_ieee_invalid_op 0
		.amdhsa_exception_fp_denorm_src 0
		.amdhsa_exception_fp_ieee_div_zero 0
		.amdhsa_exception_fp_ieee_overflow 0
		.amdhsa_exception_fp_ieee_underflow 0
		.amdhsa_exception_fp_ieee_inexact 0
		.amdhsa_exception_int_div_zero 0
	.end_amdhsa_kernel
	.section	.text._ZN7rocprim17ROCPRIM_400000_NS6detail44device_merge_sort_compile_time_verifier_archINS1_11comp_targetILNS1_3genE9ELNS1_11target_archE1100ELNS1_3gpuE3ELNS1_3repE0EEES8_NS0_14default_configES9_NS1_37merge_sort_block_sort_config_selectorIN6thrust23THRUST_200600_302600_NS5tupleIffNSC_9null_typeESE_SE_SE_SE_SE_SE_SE_EENS0_10empty_typeEEENS1_38merge_sort_block_merge_config_selectorISF_SG_EEEEvv,"axG",@progbits,_ZN7rocprim17ROCPRIM_400000_NS6detail44device_merge_sort_compile_time_verifier_archINS1_11comp_targetILNS1_3genE9ELNS1_11target_archE1100ELNS1_3gpuE3ELNS1_3repE0EEES8_NS0_14default_configES9_NS1_37merge_sort_block_sort_config_selectorIN6thrust23THRUST_200600_302600_NS5tupleIffNSC_9null_typeESE_SE_SE_SE_SE_SE_SE_EENS0_10empty_typeEEENS1_38merge_sort_block_merge_config_selectorISF_SG_EEEEvv,comdat
.Lfunc_end15:
	.size	_ZN7rocprim17ROCPRIM_400000_NS6detail44device_merge_sort_compile_time_verifier_archINS1_11comp_targetILNS1_3genE9ELNS1_11target_archE1100ELNS1_3gpuE3ELNS1_3repE0EEES8_NS0_14default_configES9_NS1_37merge_sort_block_sort_config_selectorIN6thrust23THRUST_200600_302600_NS5tupleIffNSC_9null_typeESE_SE_SE_SE_SE_SE_SE_EENS0_10empty_typeEEENS1_38merge_sort_block_merge_config_selectorISF_SG_EEEEvv, .Lfunc_end15-_ZN7rocprim17ROCPRIM_400000_NS6detail44device_merge_sort_compile_time_verifier_archINS1_11comp_targetILNS1_3genE9ELNS1_11target_archE1100ELNS1_3gpuE3ELNS1_3repE0EEES8_NS0_14default_configES9_NS1_37merge_sort_block_sort_config_selectorIN6thrust23THRUST_200600_302600_NS5tupleIffNSC_9null_typeESE_SE_SE_SE_SE_SE_SE_EENS0_10empty_typeEEENS1_38merge_sort_block_merge_config_selectorISF_SG_EEEEvv
                                        ; -- End function
	.section	.AMDGPU.csdata,"",@progbits
; Kernel info:
; codeLenInByte = 4
; NumSgprs: 6
; NumVgprs: 0
; NumAgprs: 0
; TotalNumVgprs: 0
; ScratchSize: 0
; MemoryBound: 0
; FloatMode: 240
; IeeeMode: 1
; LDSByteSize: 0 bytes/workgroup (compile time only)
; SGPRBlocks: 0
; VGPRBlocks: 0
; NumSGPRsForWavesPerEU: 6
; NumVGPRsForWavesPerEU: 1
; AccumOffset: 4
; Occupancy: 8
; WaveLimiterHint : 0
; COMPUTE_PGM_RSRC2:SCRATCH_EN: 0
; COMPUTE_PGM_RSRC2:USER_SGPR: 0
; COMPUTE_PGM_RSRC2:TRAP_HANDLER: 0
; COMPUTE_PGM_RSRC2:TGID_X_EN: 1
; COMPUTE_PGM_RSRC2:TGID_Y_EN: 0
; COMPUTE_PGM_RSRC2:TGID_Z_EN: 0
; COMPUTE_PGM_RSRC2:TIDIG_COMP_CNT: 0
; COMPUTE_PGM_RSRC3_GFX90A:ACCUM_OFFSET: 0
; COMPUTE_PGM_RSRC3_GFX90A:TG_SPLIT: 0
	.section	.text._ZN7rocprim17ROCPRIM_400000_NS6detail44device_merge_sort_compile_time_verifier_archINS1_11comp_targetILNS1_3genE8ELNS1_11target_archE1030ELNS1_3gpuE2ELNS1_3repE0EEES8_NS0_14default_configES9_NS1_37merge_sort_block_sort_config_selectorIN6thrust23THRUST_200600_302600_NS5tupleIffNSC_9null_typeESE_SE_SE_SE_SE_SE_SE_EENS0_10empty_typeEEENS1_38merge_sort_block_merge_config_selectorISF_SG_EEEEvv,"axG",@progbits,_ZN7rocprim17ROCPRIM_400000_NS6detail44device_merge_sort_compile_time_verifier_archINS1_11comp_targetILNS1_3genE8ELNS1_11target_archE1030ELNS1_3gpuE2ELNS1_3repE0EEES8_NS0_14default_configES9_NS1_37merge_sort_block_sort_config_selectorIN6thrust23THRUST_200600_302600_NS5tupleIffNSC_9null_typeESE_SE_SE_SE_SE_SE_SE_EENS0_10empty_typeEEENS1_38merge_sort_block_merge_config_selectorISF_SG_EEEEvv,comdat
	.protected	_ZN7rocprim17ROCPRIM_400000_NS6detail44device_merge_sort_compile_time_verifier_archINS1_11comp_targetILNS1_3genE8ELNS1_11target_archE1030ELNS1_3gpuE2ELNS1_3repE0EEES8_NS0_14default_configES9_NS1_37merge_sort_block_sort_config_selectorIN6thrust23THRUST_200600_302600_NS5tupleIffNSC_9null_typeESE_SE_SE_SE_SE_SE_SE_EENS0_10empty_typeEEENS1_38merge_sort_block_merge_config_selectorISF_SG_EEEEvv ; -- Begin function _ZN7rocprim17ROCPRIM_400000_NS6detail44device_merge_sort_compile_time_verifier_archINS1_11comp_targetILNS1_3genE8ELNS1_11target_archE1030ELNS1_3gpuE2ELNS1_3repE0EEES8_NS0_14default_configES9_NS1_37merge_sort_block_sort_config_selectorIN6thrust23THRUST_200600_302600_NS5tupleIffNSC_9null_typeESE_SE_SE_SE_SE_SE_SE_EENS0_10empty_typeEEENS1_38merge_sort_block_merge_config_selectorISF_SG_EEEEvv
	.globl	_ZN7rocprim17ROCPRIM_400000_NS6detail44device_merge_sort_compile_time_verifier_archINS1_11comp_targetILNS1_3genE8ELNS1_11target_archE1030ELNS1_3gpuE2ELNS1_3repE0EEES8_NS0_14default_configES9_NS1_37merge_sort_block_sort_config_selectorIN6thrust23THRUST_200600_302600_NS5tupleIffNSC_9null_typeESE_SE_SE_SE_SE_SE_SE_EENS0_10empty_typeEEENS1_38merge_sort_block_merge_config_selectorISF_SG_EEEEvv
	.p2align	8
	.type	_ZN7rocprim17ROCPRIM_400000_NS6detail44device_merge_sort_compile_time_verifier_archINS1_11comp_targetILNS1_3genE8ELNS1_11target_archE1030ELNS1_3gpuE2ELNS1_3repE0EEES8_NS0_14default_configES9_NS1_37merge_sort_block_sort_config_selectorIN6thrust23THRUST_200600_302600_NS5tupleIffNSC_9null_typeESE_SE_SE_SE_SE_SE_SE_EENS0_10empty_typeEEENS1_38merge_sort_block_merge_config_selectorISF_SG_EEEEvv,@function
_ZN7rocprim17ROCPRIM_400000_NS6detail44device_merge_sort_compile_time_verifier_archINS1_11comp_targetILNS1_3genE8ELNS1_11target_archE1030ELNS1_3gpuE2ELNS1_3repE0EEES8_NS0_14default_configES9_NS1_37merge_sort_block_sort_config_selectorIN6thrust23THRUST_200600_302600_NS5tupleIffNSC_9null_typeESE_SE_SE_SE_SE_SE_SE_EENS0_10empty_typeEEENS1_38merge_sort_block_merge_config_selectorISF_SG_EEEEvv: ; @_ZN7rocprim17ROCPRIM_400000_NS6detail44device_merge_sort_compile_time_verifier_archINS1_11comp_targetILNS1_3genE8ELNS1_11target_archE1030ELNS1_3gpuE2ELNS1_3repE0EEES8_NS0_14default_configES9_NS1_37merge_sort_block_sort_config_selectorIN6thrust23THRUST_200600_302600_NS5tupleIffNSC_9null_typeESE_SE_SE_SE_SE_SE_SE_EENS0_10empty_typeEEENS1_38merge_sort_block_merge_config_selectorISF_SG_EEEEvv
; %bb.0:
	s_endpgm
	.section	.rodata,"a",@progbits
	.p2align	6, 0x0
	.amdhsa_kernel _ZN7rocprim17ROCPRIM_400000_NS6detail44device_merge_sort_compile_time_verifier_archINS1_11comp_targetILNS1_3genE8ELNS1_11target_archE1030ELNS1_3gpuE2ELNS1_3repE0EEES8_NS0_14default_configES9_NS1_37merge_sort_block_sort_config_selectorIN6thrust23THRUST_200600_302600_NS5tupleIffNSC_9null_typeESE_SE_SE_SE_SE_SE_SE_EENS0_10empty_typeEEENS1_38merge_sort_block_merge_config_selectorISF_SG_EEEEvv
		.amdhsa_group_segment_fixed_size 0
		.amdhsa_private_segment_fixed_size 0
		.amdhsa_kernarg_size 0
		.amdhsa_user_sgpr_count 0
		.amdhsa_user_sgpr_dispatch_ptr 0
		.amdhsa_user_sgpr_queue_ptr 0
		.amdhsa_user_sgpr_kernarg_segment_ptr 0
		.amdhsa_user_sgpr_dispatch_id 0
		.amdhsa_user_sgpr_kernarg_preload_length 0
		.amdhsa_user_sgpr_kernarg_preload_offset 0
		.amdhsa_user_sgpr_private_segment_size 0
		.amdhsa_uses_dynamic_stack 0
		.amdhsa_enable_private_segment 0
		.amdhsa_system_sgpr_workgroup_id_x 1
		.amdhsa_system_sgpr_workgroup_id_y 0
		.amdhsa_system_sgpr_workgroup_id_z 0
		.amdhsa_system_sgpr_workgroup_info 0
		.amdhsa_system_vgpr_workitem_id 0
		.amdhsa_next_free_vgpr 1
		.amdhsa_next_free_sgpr 0
		.amdhsa_accum_offset 4
		.amdhsa_reserve_vcc 0
		.amdhsa_float_round_mode_32 0
		.amdhsa_float_round_mode_16_64 0
		.amdhsa_float_denorm_mode_32 3
		.amdhsa_float_denorm_mode_16_64 3
		.amdhsa_dx10_clamp 1
		.amdhsa_ieee_mode 1
		.amdhsa_fp16_overflow 0
		.amdhsa_tg_split 0
		.amdhsa_exception_fp_ieee_invalid_op 0
		.amdhsa_exception_fp_denorm_src 0
		.amdhsa_exception_fp_ieee_div_zero 0
		.amdhsa_exception_fp_ieee_overflow 0
		.amdhsa_exception_fp_ieee_underflow 0
		.amdhsa_exception_fp_ieee_inexact 0
		.amdhsa_exception_int_div_zero 0
	.end_amdhsa_kernel
	.section	.text._ZN7rocprim17ROCPRIM_400000_NS6detail44device_merge_sort_compile_time_verifier_archINS1_11comp_targetILNS1_3genE8ELNS1_11target_archE1030ELNS1_3gpuE2ELNS1_3repE0EEES8_NS0_14default_configES9_NS1_37merge_sort_block_sort_config_selectorIN6thrust23THRUST_200600_302600_NS5tupleIffNSC_9null_typeESE_SE_SE_SE_SE_SE_SE_EENS0_10empty_typeEEENS1_38merge_sort_block_merge_config_selectorISF_SG_EEEEvv,"axG",@progbits,_ZN7rocprim17ROCPRIM_400000_NS6detail44device_merge_sort_compile_time_verifier_archINS1_11comp_targetILNS1_3genE8ELNS1_11target_archE1030ELNS1_3gpuE2ELNS1_3repE0EEES8_NS0_14default_configES9_NS1_37merge_sort_block_sort_config_selectorIN6thrust23THRUST_200600_302600_NS5tupleIffNSC_9null_typeESE_SE_SE_SE_SE_SE_SE_EENS0_10empty_typeEEENS1_38merge_sort_block_merge_config_selectorISF_SG_EEEEvv,comdat
.Lfunc_end16:
	.size	_ZN7rocprim17ROCPRIM_400000_NS6detail44device_merge_sort_compile_time_verifier_archINS1_11comp_targetILNS1_3genE8ELNS1_11target_archE1030ELNS1_3gpuE2ELNS1_3repE0EEES8_NS0_14default_configES9_NS1_37merge_sort_block_sort_config_selectorIN6thrust23THRUST_200600_302600_NS5tupleIffNSC_9null_typeESE_SE_SE_SE_SE_SE_SE_EENS0_10empty_typeEEENS1_38merge_sort_block_merge_config_selectorISF_SG_EEEEvv, .Lfunc_end16-_ZN7rocprim17ROCPRIM_400000_NS6detail44device_merge_sort_compile_time_verifier_archINS1_11comp_targetILNS1_3genE8ELNS1_11target_archE1030ELNS1_3gpuE2ELNS1_3repE0EEES8_NS0_14default_configES9_NS1_37merge_sort_block_sort_config_selectorIN6thrust23THRUST_200600_302600_NS5tupleIffNSC_9null_typeESE_SE_SE_SE_SE_SE_SE_EENS0_10empty_typeEEENS1_38merge_sort_block_merge_config_selectorISF_SG_EEEEvv
                                        ; -- End function
	.section	.AMDGPU.csdata,"",@progbits
; Kernel info:
; codeLenInByte = 4
; NumSgprs: 6
; NumVgprs: 0
; NumAgprs: 0
; TotalNumVgprs: 0
; ScratchSize: 0
; MemoryBound: 0
; FloatMode: 240
; IeeeMode: 1
; LDSByteSize: 0 bytes/workgroup (compile time only)
; SGPRBlocks: 0
; VGPRBlocks: 0
; NumSGPRsForWavesPerEU: 6
; NumVGPRsForWavesPerEU: 1
; AccumOffset: 4
; Occupancy: 8
; WaveLimiterHint : 0
; COMPUTE_PGM_RSRC2:SCRATCH_EN: 0
; COMPUTE_PGM_RSRC2:USER_SGPR: 0
; COMPUTE_PGM_RSRC2:TRAP_HANDLER: 0
; COMPUTE_PGM_RSRC2:TGID_X_EN: 1
; COMPUTE_PGM_RSRC2:TGID_Y_EN: 0
; COMPUTE_PGM_RSRC2:TGID_Z_EN: 0
; COMPUTE_PGM_RSRC2:TIDIG_COMP_CNT: 0
; COMPUTE_PGM_RSRC3_GFX90A:ACCUM_OFFSET: 0
; COMPUTE_PGM_RSRC3_GFX90A:TG_SPLIT: 0
	.section	.text._ZN7rocprim17ROCPRIM_400000_NS6detail17trampoline_kernelINS0_14default_configENS1_37merge_sort_block_sort_config_selectorIN6thrust23THRUST_200600_302600_NS5tupleIffNS6_9null_typeES8_S8_S8_S8_S8_S8_S8_EENS0_10empty_typeEEEZNS1_21merge_sort_block_sortIS3_NS6_6detail15normal_iteratorINS6_10device_ptrIS9_EEEESH_PSA_SI_NS6_4lessIS9_EEEE10hipError_tT0_T1_T2_T3_mRjT4_P12ihipStream_tbNS1_7vsmem_tEEUlT_E_NS1_11comp_targetILNS1_3genE0ELNS1_11target_archE4294967295ELNS1_3gpuE0ELNS1_3repE0EEENS1_30default_config_static_selectorELNS0_4arch9wavefront6targetE1EEEvSN_,"axG",@progbits,_ZN7rocprim17ROCPRIM_400000_NS6detail17trampoline_kernelINS0_14default_configENS1_37merge_sort_block_sort_config_selectorIN6thrust23THRUST_200600_302600_NS5tupleIffNS6_9null_typeES8_S8_S8_S8_S8_S8_S8_EENS0_10empty_typeEEEZNS1_21merge_sort_block_sortIS3_NS6_6detail15normal_iteratorINS6_10device_ptrIS9_EEEESH_PSA_SI_NS6_4lessIS9_EEEE10hipError_tT0_T1_T2_T3_mRjT4_P12ihipStream_tbNS1_7vsmem_tEEUlT_E_NS1_11comp_targetILNS1_3genE0ELNS1_11target_archE4294967295ELNS1_3gpuE0ELNS1_3repE0EEENS1_30default_config_static_selectorELNS0_4arch9wavefront6targetE1EEEvSN_,comdat
	.protected	_ZN7rocprim17ROCPRIM_400000_NS6detail17trampoline_kernelINS0_14default_configENS1_37merge_sort_block_sort_config_selectorIN6thrust23THRUST_200600_302600_NS5tupleIffNS6_9null_typeES8_S8_S8_S8_S8_S8_S8_EENS0_10empty_typeEEEZNS1_21merge_sort_block_sortIS3_NS6_6detail15normal_iteratorINS6_10device_ptrIS9_EEEESH_PSA_SI_NS6_4lessIS9_EEEE10hipError_tT0_T1_T2_T3_mRjT4_P12ihipStream_tbNS1_7vsmem_tEEUlT_E_NS1_11comp_targetILNS1_3genE0ELNS1_11target_archE4294967295ELNS1_3gpuE0ELNS1_3repE0EEENS1_30default_config_static_selectorELNS0_4arch9wavefront6targetE1EEEvSN_ ; -- Begin function _ZN7rocprim17ROCPRIM_400000_NS6detail17trampoline_kernelINS0_14default_configENS1_37merge_sort_block_sort_config_selectorIN6thrust23THRUST_200600_302600_NS5tupleIffNS6_9null_typeES8_S8_S8_S8_S8_S8_S8_EENS0_10empty_typeEEEZNS1_21merge_sort_block_sortIS3_NS6_6detail15normal_iteratorINS6_10device_ptrIS9_EEEESH_PSA_SI_NS6_4lessIS9_EEEE10hipError_tT0_T1_T2_T3_mRjT4_P12ihipStream_tbNS1_7vsmem_tEEUlT_E_NS1_11comp_targetILNS1_3genE0ELNS1_11target_archE4294967295ELNS1_3gpuE0ELNS1_3repE0EEENS1_30default_config_static_selectorELNS0_4arch9wavefront6targetE1EEEvSN_
	.globl	_ZN7rocprim17ROCPRIM_400000_NS6detail17trampoline_kernelINS0_14default_configENS1_37merge_sort_block_sort_config_selectorIN6thrust23THRUST_200600_302600_NS5tupleIffNS6_9null_typeES8_S8_S8_S8_S8_S8_S8_EENS0_10empty_typeEEEZNS1_21merge_sort_block_sortIS3_NS6_6detail15normal_iteratorINS6_10device_ptrIS9_EEEESH_PSA_SI_NS6_4lessIS9_EEEE10hipError_tT0_T1_T2_T3_mRjT4_P12ihipStream_tbNS1_7vsmem_tEEUlT_E_NS1_11comp_targetILNS1_3genE0ELNS1_11target_archE4294967295ELNS1_3gpuE0ELNS1_3repE0EEENS1_30default_config_static_selectorELNS0_4arch9wavefront6targetE1EEEvSN_
	.p2align	8
	.type	_ZN7rocprim17ROCPRIM_400000_NS6detail17trampoline_kernelINS0_14default_configENS1_37merge_sort_block_sort_config_selectorIN6thrust23THRUST_200600_302600_NS5tupleIffNS6_9null_typeES8_S8_S8_S8_S8_S8_S8_EENS0_10empty_typeEEEZNS1_21merge_sort_block_sortIS3_NS6_6detail15normal_iteratorINS6_10device_ptrIS9_EEEESH_PSA_SI_NS6_4lessIS9_EEEE10hipError_tT0_T1_T2_T3_mRjT4_P12ihipStream_tbNS1_7vsmem_tEEUlT_E_NS1_11comp_targetILNS1_3genE0ELNS1_11target_archE4294967295ELNS1_3gpuE0ELNS1_3repE0EEENS1_30default_config_static_selectorELNS0_4arch9wavefront6targetE1EEEvSN_,@function
_ZN7rocprim17ROCPRIM_400000_NS6detail17trampoline_kernelINS0_14default_configENS1_37merge_sort_block_sort_config_selectorIN6thrust23THRUST_200600_302600_NS5tupleIffNS6_9null_typeES8_S8_S8_S8_S8_S8_S8_EENS0_10empty_typeEEEZNS1_21merge_sort_block_sortIS3_NS6_6detail15normal_iteratorINS6_10device_ptrIS9_EEEESH_PSA_SI_NS6_4lessIS9_EEEE10hipError_tT0_T1_T2_T3_mRjT4_P12ihipStream_tbNS1_7vsmem_tEEUlT_E_NS1_11comp_targetILNS1_3genE0ELNS1_11target_archE4294967295ELNS1_3gpuE0ELNS1_3repE0EEENS1_30default_config_static_selectorELNS0_4arch9wavefront6targetE1EEEvSN_: ; @_ZN7rocprim17ROCPRIM_400000_NS6detail17trampoline_kernelINS0_14default_configENS1_37merge_sort_block_sort_config_selectorIN6thrust23THRUST_200600_302600_NS5tupleIffNS6_9null_typeES8_S8_S8_S8_S8_S8_S8_EENS0_10empty_typeEEEZNS1_21merge_sort_block_sortIS3_NS6_6detail15normal_iteratorINS6_10device_ptrIS9_EEEESH_PSA_SI_NS6_4lessIS9_EEEE10hipError_tT0_T1_T2_T3_mRjT4_P12ihipStream_tbNS1_7vsmem_tEEUlT_E_NS1_11comp_targetILNS1_3genE0ELNS1_11target_archE4294967295ELNS1_3gpuE0ELNS1_3repE0EEENS1_30default_config_static_selectorELNS0_4arch9wavefront6targetE1EEEvSN_
; %bb.0:
	.section	.rodata,"a",@progbits
	.p2align	6, 0x0
	.amdhsa_kernel _ZN7rocprim17ROCPRIM_400000_NS6detail17trampoline_kernelINS0_14default_configENS1_37merge_sort_block_sort_config_selectorIN6thrust23THRUST_200600_302600_NS5tupleIffNS6_9null_typeES8_S8_S8_S8_S8_S8_S8_EENS0_10empty_typeEEEZNS1_21merge_sort_block_sortIS3_NS6_6detail15normal_iteratorINS6_10device_ptrIS9_EEEESH_PSA_SI_NS6_4lessIS9_EEEE10hipError_tT0_T1_T2_T3_mRjT4_P12ihipStream_tbNS1_7vsmem_tEEUlT_E_NS1_11comp_targetILNS1_3genE0ELNS1_11target_archE4294967295ELNS1_3gpuE0ELNS1_3repE0EEENS1_30default_config_static_selectorELNS0_4arch9wavefront6targetE1EEEvSN_
		.amdhsa_group_segment_fixed_size 0
		.amdhsa_private_segment_fixed_size 0
		.amdhsa_kernarg_size 64
		.amdhsa_user_sgpr_count 2
		.amdhsa_user_sgpr_dispatch_ptr 0
		.amdhsa_user_sgpr_queue_ptr 0
		.amdhsa_user_sgpr_kernarg_segment_ptr 1
		.amdhsa_user_sgpr_dispatch_id 0
		.amdhsa_user_sgpr_kernarg_preload_length 0
		.amdhsa_user_sgpr_kernarg_preload_offset 0
		.amdhsa_user_sgpr_private_segment_size 0
		.amdhsa_uses_dynamic_stack 0
		.amdhsa_enable_private_segment 0
		.amdhsa_system_sgpr_workgroup_id_x 1
		.amdhsa_system_sgpr_workgroup_id_y 0
		.amdhsa_system_sgpr_workgroup_id_z 0
		.amdhsa_system_sgpr_workgroup_info 0
		.amdhsa_system_vgpr_workitem_id 0
		.amdhsa_next_free_vgpr 1
		.amdhsa_next_free_sgpr 0
		.amdhsa_accum_offset 4
		.amdhsa_reserve_vcc 0
		.amdhsa_float_round_mode_32 0
		.amdhsa_float_round_mode_16_64 0
		.amdhsa_float_denorm_mode_32 3
		.amdhsa_float_denorm_mode_16_64 3
		.amdhsa_dx10_clamp 1
		.amdhsa_ieee_mode 1
		.amdhsa_fp16_overflow 0
		.amdhsa_tg_split 0
		.amdhsa_exception_fp_ieee_invalid_op 0
		.amdhsa_exception_fp_denorm_src 0
		.amdhsa_exception_fp_ieee_div_zero 0
		.amdhsa_exception_fp_ieee_overflow 0
		.amdhsa_exception_fp_ieee_underflow 0
		.amdhsa_exception_fp_ieee_inexact 0
		.amdhsa_exception_int_div_zero 0
	.end_amdhsa_kernel
	.section	.text._ZN7rocprim17ROCPRIM_400000_NS6detail17trampoline_kernelINS0_14default_configENS1_37merge_sort_block_sort_config_selectorIN6thrust23THRUST_200600_302600_NS5tupleIffNS6_9null_typeES8_S8_S8_S8_S8_S8_S8_EENS0_10empty_typeEEEZNS1_21merge_sort_block_sortIS3_NS6_6detail15normal_iteratorINS6_10device_ptrIS9_EEEESH_PSA_SI_NS6_4lessIS9_EEEE10hipError_tT0_T1_T2_T3_mRjT4_P12ihipStream_tbNS1_7vsmem_tEEUlT_E_NS1_11comp_targetILNS1_3genE0ELNS1_11target_archE4294967295ELNS1_3gpuE0ELNS1_3repE0EEENS1_30default_config_static_selectorELNS0_4arch9wavefront6targetE1EEEvSN_,"axG",@progbits,_ZN7rocprim17ROCPRIM_400000_NS6detail17trampoline_kernelINS0_14default_configENS1_37merge_sort_block_sort_config_selectorIN6thrust23THRUST_200600_302600_NS5tupleIffNS6_9null_typeES8_S8_S8_S8_S8_S8_S8_EENS0_10empty_typeEEEZNS1_21merge_sort_block_sortIS3_NS6_6detail15normal_iteratorINS6_10device_ptrIS9_EEEESH_PSA_SI_NS6_4lessIS9_EEEE10hipError_tT0_T1_T2_T3_mRjT4_P12ihipStream_tbNS1_7vsmem_tEEUlT_E_NS1_11comp_targetILNS1_3genE0ELNS1_11target_archE4294967295ELNS1_3gpuE0ELNS1_3repE0EEENS1_30default_config_static_selectorELNS0_4arch9wavefront6targetE1EEEvSN_,comdat
.Lfunc_end17:
	.size	_ZN7rocprim17ROCPRIM_400000_NS6detail17trampoline_kernelINS0_14default_configENS1_37merge_sort_block_sort_config_selectorIN6thrust23THRUST_200600_302600_NS5tupleIffNS6_9null_typeES8_S8_S8_S8_S8_S8_S8_EENS0_10empty_typeEEEZNS1_21merge_sort_block_sortIS3_NS6_6detail15normal_iteratorINS6_10device_ptrIS9_EEEESH_PSA_SI_NS6_4lessIS9_EEEE10hipError_tT0_T1_T2_T3_mRjT4_P12ihipStream_tbNS1_7vsmem_tEEUlT_E_NS1_11comp_targetILNS1_3genE0ELNS1_11target_archE4294967295ELNS1_3gpuE0ELNS1_3repE0EEENS1_30default_config_static_selectorELNS0_4arch9wavefront6targetE1EEEvSN_, .Lfunc_end17-_ZN7rocprim17ROCPRIM_400000_NS6detail17trampoline_kernelINS0_14default_configENS1_37merge_sort_block_sort_config_selectorIN6thrust23THRUST_200600_302600_NS5tupleIffNS6_9null_typeES8_S8_S8_S8_S8_S8_S8_EENS0_10empty_typeEEEZNS1_21merge_sort_block_sortIS3_NS6_6detail15normal_iteratorINS6_10device_ptrIS9_EEEESH_PSA_SI_NS6_4lessIS9_EEEE10hipError_tT0_T1_T2_T3_mRjT4_P12ihipStream_tbNS1_7vsmem_tEEUlT_E_NS1_11comp_targetILNS1_3genE0ELNS1_11target_archE4294967295ELNS1_3gpuE0ELNS1_3repE0EEENS1_30default_config_static_selectorELNS0_4arch9wavefront6targetE1EEEvSN_
                                        ; -- End function
	.section	.AMDGPU.csdata,"",@progbits
; Kernel info:
; codeLenInByte = 0
; NumSgprs: 6
; NumVgprs: 0
; NumAgprs: 0
; TotalNumVgprs: 0
; ScratchSize: 0
; MemoryBound: 0
; FloatMode: 240
; IeeeMode: 1
; LDSByteSize: 0 bytes/workgroup (compile time only)
; SGPRBlocks: 0
; VGPRBlocks: 0
; NumSGPRsForWavesPerEU: 6
; NumVGPRsForWavesPerEU: 1
; AccumOffset: 4
; Occupancy: 8
; WaveLimiterHint : 0
; COMPUTE_PGM_RSRC2:SCRATCH_EN: 0
; COMPUTE_PGM_RSRC2:USER_SGPR: 2
; COMPUTE_PGM_RSRC2:TRAP_HANDLER: 0
; COMPUTE_PGM_RSRC2:TGID_X_EN: 1
; COMPUTE_PGM_RSRC2:TGID_Y_EN: 0
; COMPUTE_PGM_RSRC2:TGID_Z_EN: 0
; COMPUTE_PGM_RSRC2:TIDIG_COMP_CNT: 0
; COMPUTE_PGM_RSRC3_GFX90A:ACCUM_OFFSET: 0
; COMPUTE_PGM_RSRC3_GFX90A:TG_SPLIT: 0
	.text
	.p2align	2                               ; -- Begin function _ZN7rocprim17ROCPRIM_400000_NS6detail15block_sort_implIN6thrust23THRUST_200600_302600_NS5tupleIffNS4_9null_typeES6_S6_S6_S6_S6_S6_S6_EENS0_10empty_typeELj256ELj8ELNS0_4arch9wavefront6targetE1EvE4sortINS4_6detail15normal_iteratorINS4_10device_ptrIS7_EEEESI_PS8_SJ_NS4_4lessIS7_EEEEvjbT_T0_T1_T2_T3_RNSC_12storage_typeE
	.type	_ZN7rocprim17ROCPRIM_400000_NS6detail15block_sort_implIN6thrust23THRUST_200600_302600_NS5tupleIffNS4_9null_typeES6_S6_S6_S6_S6_S6_S6_EENS0_10empty_typeELj256ELj8ELNS0_4arch9wavefront6targetE1EvE4sortINS4_6detail15normal_iteratorINS4_10device_ptrIS7_EEEESI_PS8_SJ_NS4_4lessIS7_EEEEvjbT_T0_T1_T2_T3_RNSC_12storage_typeE,@function
_ZN7rocprim17ROCPRIM_400000_NS6detail15block_sort_implIN6thrust23THRUST_200600_302600_NS5tupleIffNS4_9null_typeES6_S6_S6_S6_S6_S6_S6_EENS0_10empty_typeELj256ELj8ELNS0_4arch9wavefront6targetE1EvE4sortINS4_6detail15normal_iteratorINS4_10device_ptrIS7_EEEESI_PS8_SJ_NS4_4lessIS7_EEEEvjbT_T0_T1_T2_T3_RNSC_12storage_typeE: ; @_ZN7rocprim17ROCPRIM_400000_NS6detail15block_sort_implIN6thrust23THRUST_200600_302600_NS5tupleIffNS4_9null_typeES6_S6_S6_S6_S6_S6_S6_EENS0_10empty_typeELj256ELj8ELNS0_4arch9wavefront6targetE1EvE4sortINS4_6detail15normal_iteratorINS4_10device_ptrIS7_EEEESI_PS8_SJ_NS4_4lessIS7_EEEEvjbT_T0_T1_T2_T3_RNSC_12storage_typeE
; %bb.0:
	s_waitcnt vmcnt(0) expcnt(0) lgkmcnt(0)
	s_or_saveexec_b64 s[0:1], -1
	scratch_store_dword off, v40, s32       ; 4-byte Folded Spill
	s_mov_b64 exec, s[0:1]
	v_writelane_b32 v40, s34, 0
	v_writelane_b32 v40, s35, 1
	;; [unrolled: 1-line block ×16, first 2 shown]
	s_nop 1
	v_writelane_b32 v40, s31, 16
	v_and_b32_e32 v1, 1, v1
	v_cmp_eq_u32_e32 vcc, 1, v1
	v_and_b32_e32 v32, 0x3ff, v31
	s_xor_b64 s[0:1], vcc, -1
	v_bfe_u32 v29, v31, 10, 10
	v_bfe_u32 v28, v31, 20, 10
	v_lshlrev_b32_e32 v22, 3, v32
	v_lshrrev_b32_e32 v30, 2, v32
	s_and_saveexec_b64 s[2:3], s[0:1]
	s_xor_b64 s[4:5], exec, s[2:3]
	s_cbranch_execz .LBB18_556
; %bb.1:
	v_mov_b32_e32 v23, 0
	v_lshl_add_u64 v[0:1], v[2:3], 0, v[22:23]
	s_movk_i32 s1, 0x2000
	v_add_co_u32_e32 v2, vcc, s1, v0
	s_movk_i32 s1, 0x1000
	s_nop 0
	v_addc_co_u32_e32 v3, vcc, 0, v1, vcc
	v_add_co_u32_e32 v6, vcc, s1, v0
	s_movk_i32 s0, 0x3000
	s_nop 0
	v_addc_co_u32_e32 v7, vcc, 0, v1, vcc
	flat_load_dwordx2 v[8:9], v[6:7] offset:2048
	flat_load_dwordx2 v[10:11], v[6:7]
	flat_load_dwordx2 v[12:13], v[0:1] offset:2048
	flat_load_dwordx2 v[14:15], v[0:1]
	;; [unrolled: 2-line block ×3, first 2 shown]
	v_add_co_u32_e32 v0, vcc, s0, v0
	v_add_u32_e32 v19, 0x200, v32
	s_nop 0
	v_addc_co_u32_e32 v1, vcc, 0, v1, vcc
	flat_load_dwordx2 v[2:3], v[0:1]
	flat_load_dwordx2 v[6:7], v[0:1] offset:2048
	v_and_b32_e32 v0, 0xf8, v30
	v_add_u32_e32 v1, 0x100, v32
	v_add_u32_e32 v20, 0x300, v32
	v_or_b32_e32 v21, 0x400, v32
	v_add_u32_e32 v24, 0x500, v32
	v_add_u32_e32 v25, 0x600, v32
	;; [unrolled: 1-line block ×4, first 2 shown]
	v_lshrrev_b32_e32 v0, 2, v1
	v_lshrrev_b32_e32 v1, 2, v19
	;; [unrolled: 1-line block ×7, first 2 shown]
	v_add_lshl_u32 v31, v30, v22, 3
	v_and_b32_e32 v0, 0x1f8, v0
	v_and_b32_e32 v1, 0x1f8, v1
	;; [unrolled: 1-line block ×7, first 2 shown]
	v_add_u32_e32 v19, v0, v22
	v_add_u32_e32 v20, v1, v22
	;; [unrolled: 1-line block ×7, first 2 shown]
	s_waitcnt vmcnt(0) lgkmcnt(0)
	ds_write_b64 v18, v[14:15]
	ds_write_b64 v19, v[12:13] offset:2048
	ds_write_b64 v20, v[10:11] offset:4096
	;; [unrolled: 1-line block ×7, first 2 shown]
	s_waitcnt lgkmcnt(0)
	s_barrier
	ds_read2_b64 v[0:3], v31 offset1:1
	ds_read2_b64 v[14:17], v31 offset0:2 offset1:3
	ds_read2_b64 v[10:13], v31 offset0:4 offset1:5
	;; [unrolled: 1-line block ×3, first 2 shown]
	s_waitcnt lgkmcnt(0)
	s_barrier
	s_load_dwordx2 s[0:1], s[8:9], 0x0
	s_waitcnt lgkmcnt(0)
	s_cmp_lt_u32 s12, s0
	s_cselect_b32 s2, 12, 18
	s_cmp_lt_u32 s13, s1
	s_cselect_b32 s0, 14, 20
	s_add_u32 s0, s8, s0
	s_addc_u32 s1, s9, 0
	s_add_u32 s2, s8, s2
	s_addc_u32 s3, s9, 0
	global_load_ushort v31, v23, s[0:1]
	global_load_ushort v33, v23, s[2:3]
	s_movk_i32 s0, 0x800
	s_waitcnt vmcnt(1)
	v_mad_u32_u24 v23, v28, v31, v29
	s_waitcnt vmcnt(0)
	v_mul_lo_u32 v23, v23, v33
	v_add_lshl_u32 v23, v23, v32, 3
	v_cmp_gt_u32_e32 vcc, s0, v23
	s_and_saveexec_b64 s[6:7], vcc
	s_cbranch_execz .LBB18_59
; %bb.2:
	v_cmp_nlt_f32_e64 s[0:1], v0, v2
	v_cmp_lt_f32_e64 s[2:3], v3, v1
	v_cmp_lt_f32_e32 vcc, v2, v0
	s_and_b64 s[0:1], s[0:1], s[2:3]
	s_or_b64 s[2:3], vcc, s[0:1]
	v_mov_b32_e32 v33, v3
	v_mov_b32_e32 v34, v2
	s_and_saveexec_b64 s[0:1], s[2:3]
; %bb.3:
	v_mov_b32_e32 v33, v1
	v_mov_b32_e32 v34, v0
	v_mov_b32_e32 v1, v3
	v_mov_b32_e32 v0, v2
; %bb.4:
	s_or_b64 exec, exec, s[0:1]
	v_cmp_nlt_f32_e64 s[0:1], v14, v16
	v_cmp_lt_f32_e64 s[2:3], v17, v15
	v_cmp_lt_f32_e32 vcc, v16, v14
	s_and_b64 s[0:1], s[0:1], s[2:3]
	s_or_b64 s[2:3], vcc, s[0:1]
	v_mov_b32_e32 v29, v17
	v_mov_b32_e32 v31, v16
	s_and_saveexec_b64 s[0:1], s[2:3]
; %bb.5:
	v_mov_b32_e32 v29, v15
	v_mov_b32_e32 v31, v14
	v_mov_b32_e32 v15, v17
	v_mov_b32_e32 v14, v16
; %bb.6:
	s_or_b64 exec, exec, s[0:1]
	;; [unrolled: 15-line block ×4, first 2 shown]
	v_cmp_nlt_f32_e32 vcc, v14, v34
	s_mov_b64 s[0:1], -1
	s_and_saveexec_b64 s[2:3], vcc
	s_xor_b64 s[2:3], exec, s[2:3]
; %bb.11:
	v_cmp_nlt_f32_e32 vcc, v34, v14
	v_cmp_lt_f32_e64 s[0:1], v15, v33
	s_and_b64 s[0:1], vcc, s[0:1]
	s_orn2_b64 s[0:1], s[0:1], exec
; %bb.12:
	s_or_b64 exec, exec, s[2:3]
	v_mov_b32_e32 v8, v15
	v_mov_b32_e32 v16, v14
	s_and_saveexec_b64 s[2:3], s[0:1]
; %bb.13:
	v_mov_b32_e32 v8, v33
	v_mov_b32_e32 v16, v34
	v_mov_b32_e32 v33, v15
	v_mov_b32_e32 v34, v14
; %bb.14:
	s_or_b64 exec, exec, s[2:3]
	v_cmp_lt_f32_e64 s[2:3], v10, v31
	v_cmp_nlt_f32_e32 vcc, v10, v31
	s_and_saveexec_b64 s[10:11], vcc
; %bb.15:
	v_cmp_nlt_f32_e32 vcc, v31, v10
	v_cmp_lt_f32_e64 s[0:1], v11, v29
	s_and_b64 s[0:1], vcc, s[0:1]
	s_andn2_b64 s[2:3], s[2:3], exec
	s_and_b64 s[0:1], s[0:1], exec
	s_or_b64 s[2:3], s[2:3], s[0:1]
; %bb.16:
	s_or_b64 exec, exec, s[10:11]
	v_mov_b32_e32 v9, v11
	v_mov_b32_e32 v14, v10
	s_and_saveexec_b64 s[0:1], s[2:3]
; %bb.17:
	v_mov_b32_e32 v9, v29
	v_mov_b32_e32 v14, v31
	v_mov_b32_e32 v29, v11
	v_mov_b32_e32 v31, v10
; %bb.18:
	s_or_b64 exec, exec, s[0:1]
	v_cmp_lt_f32_e64 s[2:3], v6, v28
	v_cmp_nlt_f32_e32 vcc, v6, v28
	s_and_saveexec_b64 s[10:11], vcc
; %bb.19:
	v_cmp_nlt_f32_e32 vcc, v28, v6
	v_cmp_lt_f32_e64 s[0:1], v7, v17
	s_and_b64 s[0:1], vcc, s[0:1]
	s_andn2_b64 s[2:3], s[2:3], exec
	s_and_b64 s[0:1], s[0:1], exec
	s_or_b64 s[2:3], s[2:3], s[0:1]
	;; [unrolled: 22-line block ×11, first 2 shown]
; %bb.56:
	s_or_b64 exec, exec, s[10:11]
	v_mov_b32_e32 v6, v7
	v_mov_b32_e32 v15, v29
	s_and_saveexec_b64 s[0:1], s[2:3]
; %bb.57:
	v_mov_b32_e32 v6, v8
	v_mov_b32_e32 v15, v16
	;; [unrolled: 1-line block ×4, first 2 shown]
; %bb.58:
	s_or_b64 exec, exec, s[0:1]
	v_cmp_lt_f32_e64 s[0:1], v0, v3
	v_cmp_nlt_f32_e64 s[2:3], v2, v1
	v_cmp_nlt_f32_e32 vcc, v3, v0
	s_or_b64 s[0:1], s[0:1], s[2:3]
	s_and_b64 vcc, vcc, s[0:1]
	v_cmp_lt_f32_e64 s[0:1], v14, v28
	v_cmp_nlt_f32_e64 s[2:3], v17, v9
	v_cndmask_b32_e32 v7, v1, v2, vcc
	v_cndmask_b32_e32 v29, v0, v3, vcc
	v_cndmask_b32_e32 v2, v2, v1, vcc
	v_cndmask_b32_e32 v3, v3, v0, vcc
	v_cmp_nlt_f32_e32 vcc, v28, v14
	s_or_b64 s[0:1], s[0:1], s[2:3]
	s_and_b64 vcc, vcc, s[0:1]
	v_cmp_lt_f32_e64 s[0:1], v29, v13
	v_cmp_nlt_f32_e64 s[2:3], v12, v7
	v_cndmask_b32_e32 v0, v17, v9, vcc
	v_cndmask_b32_e32 v1, v28, v14, vcc
	v_cndmask_b32_e32 v9, v9, v17, vcc
	v_cndmask_b32_e32 v14, v14, v28, vcc
	;; [unrolled: 9-line block ×11, first 2 shown]
	v_cmp_nlt_f32_e32 vcc, v37, v35
	s_or_b64 s[0:1], s[0:1], s[2:3]
	s_and_b64 vcc, vcc, s[0:1]
	v_cndmask_b32_e32 v13, v36, v6, vcc
	v_cndmask_b32_e32 v12, v37, v35, vcc
	v_cndmask_b32_e32 v7, v6, v36, vcc
	v_cndmask_b32_e32 v6, v35, v37, vcc
.LBB18_59:
	s_or_b64 exec, exec, s[6:7]
	v_mbcnt_lo_u32_b32 v28, -1, 0
	v_mbcnt_hi_u32_b32 v31, -1, v28
	v_and_b32_e32 v23, 0xfffffe00, v23
	s_movk_i32 s0, 0x800
	v_lshlrev_b32_e32 v29, 6, v31
	v_lshlrev_b32_e32 v31, 3, v31
	v_sub_u32_e64 v28, s0, v23 clamp
	v_or_b32_e32 v33, 8, v31
	v_min_u32_e32 v33, v28, v33
	v_add_u32_e32 v34, 8, v33
	v_and_b32_e32 v37, 0x3f0, v31
	v_min_u32_e32 v34, v28, v34
	v_and_b32_e32 v35, 8, v31
	v_min_u32_e32 v38, v28, v35
	v_sub_u32_e32 v39, v33, v37
	v_sub_u32_e32 v36, v34, v33
	v_lshlrev_b32_e32 v23, 3, v23
	v_sub_u32_e64 v36, v38, v36 clamp
	v_min_u32_e32 v39, v38, v39
	v_add_u32_e32 v29, v23, v29
	v_lshl_add_u32 v35, v37, 3, v23
	v_cmp_lt_u32_e32 vcc, v36, v39
	ds_write_b128 v29, v[0:3]
	ds_write_b128 v29, v[14:17] offset:16
	ds_write_b128 v29, v[10:13] offset:32
	;; [unrolled: 1-line block ×3, first 2 shown]
	; wave barrier
	s_and_saveexec_b64 s[0:1], vcc
	s_cbranch_execz .LBB18_67
; %bb.60:
	v_lshlrev_b32_e32 v48, 3, v33
	v_lshlrev_b32_e32 v49, 3, v38
	v_add3_u32 v48, v23, v48, v49
	s_mov_b64 s[2:3], 0
                                        ; implicit-def: $sgpr6_sgpr7
	s_branch .LBB18_63
.LBB18_61:                              ;   in Loop: Header=BB18_63 Depth=1
	s_or_b64 exec, exec, s[16:17]
	s_andn2_b64 s[6:7], s[6:7], exec
	s_and_b64 s[14:15], s[14:15], exec
	s_or_b64 s[6:7], s[6:7], s[14:15]
.LBB18_62:                              ;   in Loop: Header=BB18_63 Depth=1
	s_or_b64 exec, exec, s[10:11]
	v_add_u32_e32 v50, 1, v49
	v_cndmask_b32_e64 v39, v39, v49, s[6:7]
	v_cndmask_b32_e64 v36, v50, v36, s[6:7]
	v_cmp_ge_u32_e32 vcc, v36, v39
	s_or_b64 s[2:3], vcc, s[2:3]
	s_andn2_b64 exec, exec, s[2:3]
	s_cbranch_execz .LBB18_66
.LBB18_63:                              ; =>This Inner Loop Header: Depth=1
	v_add_u32_e32 v49, v39, v36
	v_lshrrev_b32_e32 v49, 1, v49
	v_not_b32_e32 v51, v49
	v_lshl_add_u32 v50, v49, 3, v35
	v_lshl_add_u32 v51, v51, 3, v48
	ds_read_b32 v52, v50
	ds_read_b32 v53, v51
	s_or_b64 s[6:7], s[6:7], exec
	s_waitcnt lgkmcnt(0)
	v_cmp_nlt_f32_e32 vcc, v53, v52
	s_and_saveexec_b64 s[10:11], vcc
	s_cbranch_execz .LBB18_62
; %bb.64:                               ;   in Loop: Header=BB18_63 Depth=1
	v_cmp_nlt_f32_e32 vcc, v52, v53
	s_mov_b64 s[14:15], 0
	s_and_saveexec_b64 s[16:17], vcc
	s_cbranch_execz .LBB18_61
; %bb.65:                               ;   in Loop: Header=BB18_63 Depth=1
	ds_read_b32 v51, v51 offset:4
	ds_read_b32 v50, v50 offset:4
	s_waitcnt lgkmcnt(0)
	v_cmp_lt_f32_e32 vcc, v51, v50
	s_and_b64 s[14:15], vcc, exec
	s_branch .LBB18_61
.LBB18_66:
	s_or_b64 exec, exec, s[2:3]
.LBB18_67:
	s_or_b64 exec, exec, s[0:1]
	v_add_u32_e32 v38, v33, v38
	v_add_u32_e32 v37, v36, v37
	v_sub_u32_e32 v38, v38, v36
	v_cmp_le_u32_e32 vcc, v37, v33
	v_cmp_le_u32_e64 s[0:1], v38, v34
	s_or_b64 s[0:1], vcc, s[0:1]
	s_and_saveexec_b64 s[2:3], s[0:1]
	s_cbranch_execz .LBB18_121
; %bb.68:
	v_cmp_ge_u32_e32 vcc, v37, v33
	v_cmp_lt_u32_e64 s[0:1], v37, v33
	v_mov_b32_e32 v0, 0
	v_mov_b32_e32 v8, 0
	;; [unrolled: 1-line block ×3, first 2 shown]
	s_and_saveexec_b64 s[6:7], s[0:1]
	s_cbranch_execz .LBB18_70
; %bb.69:
	v_lshl_add_u32 v1, v36, 3, v35
	ds_read_b64 v[8:9], v1
.LBB18_70:
	s_or_b64 exec, exec, s[6:7]
	v_cmp_ge_u32_e64 s[6:7], v38, v34
	v_cmp_lt_u32_e64 s[0:1], v38, v34
	v_mov_b32_e32 v1, 0
	s_and_saveexec_b64 s[10:11], s[0:1]
	s_cbranch_execz .LBB18_72
; %bb.71:
	v_lshl_add_u32 v0, v38, 3, v23
	ds_read_b64 v[0:1], v0
.LBB18_72:
	s_or_b64 exec, exec, s[10:11]
	s_or_b64 s[0:1], vcc, s[6:7]
	s_mov_b64 s[10:11], -1
	s_xor_b64 s[14:15], s[0:1], -1
	s_and_saveexec_b64 s[0:1], s[14:15]
	s_cbranch_execz .LBB18_78
; %bb.73:
	s_waitcnt lgkmcnt(0)
	v_cmp_nlt_f32_e32 vcc, v0, v8
	s_mov_b64 s[16:17], 0
	s_and_saveexec_b64 s[14:15], vcc
	s_cbranch_execz .LBB18_77
; %bb.74:
	v_cmp_nlt_f32_e32 vcc, v8, v0
	s_mov_b64 s[16:17], -1
	s_and_saveexec_b64 s[18:19], vcc
; %bb.75:
	v_cmp_nlt_f32_e32 vcc, v1, v9
	s_orn2_b64 s[16:17], vcc, exec
; %bb.76:
	s_or_b64 exec, exec, s[18:19]
	s_and_b64 s[16:17], s[16:17], exec
.LBB18_77:
	s_or_b64 exec, exec, s[14:15]
	s_andn2_b64 s[6:7], s[6:7], exec
	s_and_b64 s[14:15], s[16:17], exec
	s_or_b64 s[6:7], s[6:7], s[14:15]
.LBB18_78:
	s_or_b64 exec, exec, s[0:1]
	v_cndmask_b32_e64 v2, v38, v37, s[6:7]
	v_cndmask_b32_e64 v3, v34, v33, s[6:7]
	v_add_u32_e32 v10, 1, v2
	v_add_u32_e32 v2, -1, v3
	v_min_u32_e32 v2, v10, v2
	v_lshl_add_u32 v2, v2, 3, v23
	ds_read_b64 v[6:7], v2
	s_waitcnt lgkmcnt(0)
	v_cndmask_b32_e64 v2, v6, v0, s[6:7]
	v_cndmask_b32_e64 v35, v8, v6, s[6:7]
	;; [unrolled: 1-line block ×6, first 2 shown]
	v_cmp_lt_u32_e32 vcc, v6, v34
	s_and_saveexec_b64 s[14:15], vcc
	s_cbranch_execz .LBB18_84
; %bb.79:
	v_cmp_lt_u32_e32 vcc, v7, v33
	v_cmp_nlt_f32_e64 s[0:1], v2, v35
	s_and_b64 s[16:17], vcc, s[0:1]
	s_mov_b64 s[10:11], 0
	s_and_saveexec_b64 s[0:1], s[16:17]
	s_cbranch_execz .LBB18_83
; %bb.80:
	v_cmp_nlt_f32_e32 vcc, v35, v2
	s_mov_b64 s[10:11], -1
	s_and_saveexec_b64 s[16:17], vcc
; %bb.81:
	v_cmp_nlt_f32_e32 vcc, v3, v36
	s_orn2_b64 s[10:11], vcc, exec
; %bb.82:
	s_or_b64 exec, exec, s[16:17]
	s_and_b64 s[10:11], s[10:11], exec
.LBB18_83:
	s_or_b64 exec, exec, s[0:1]
	s_orn2_b64 s[10:11], s[10:11], exec
.LBB18_84:
	s_or_b64 exec, exec, s[14:15]
	v_cndmask_b32_e64 v10, v6, v7, s[10:11]
	v_cndmask_b32_e64 v11, v34, v33, s[10:11]
	v_add_u32_e32 v12, 1, v10
	v_add_u32_e32 v10, -1, v11
	v_min_u32_e32 v10, v12, v10
	v_lshl_add_u32 v10, v10, 3, v23
	ds_read_b64 v[10:11], v10
	v_cndmask_b32_e64 v6, v12, v6, s[10:11]
	v_cndmask_b32_e64 v7, v7, v12, s[10:11]
	v_cmp_lt_u32_e32 vcc, v6, v34
	s_mov_b64 s[16:17], -1
	s_waitcnt lgkmcnt(0)
	v_cndmask_b32_e64 v14, v10, v2, s[10:11]
	v_cndmask_b32_e64 v15, v11, v3, s[10:11]
	;; [unrolled: 1-line block ×4, first 2 shown]
	s_mov_b64 s[14:15], -1
	s_and_saveexec_b64 s[18:19], vcc
	s_cbranch_execz .LBB18_90
; %bb.85:
	v_cmp_lt_u32_e32 vcc, v7, v33
	v_cmp_nlt_f32_e64 s[0:1], v14, v37
	s_and_b64 s[20:21], vcc, s[0:1]
	s_mov_b64 s[14:15], 0
	s_and_saveexec_b64 s[0:1], s[20:21]
	s_cbranch_execz .LBB18_89
; %bb.86:
	v_cmp_nlt_f32_e32 vcc, v37, v14
	s_mov_b64 s[14:15], -1
	s_and_saveexec_b64 s[20:21], vcc
; %bb.87:
	v_cmp_nlt_f32_e32 vcc, v15, v38
	s_orn2_b64 s[14:15], vcc, exec
; %bb.88:
	s_or_b64 exec, exec, s[20:21]
	s_and_b64 s[14:15], s[14:15], exec
.LBB18_89:
	s_or_b64 exec, exec, s[0:1]
	s_orn2_b64 s[14:15], s[14:15], exec
.LBB18_90:
	s_or_b64 exec, exec, s[18:19]
	v_cndmask_b32_e64 v10, v6, v7, s[14:15]
	v_cndmask_b32_e64 v11, v34, v33, s[14:15]
	v_add_u32_e32 v12, 1, v10
	v_add_u32_e32 v10, -1, v11
	v_min_u32_e32 v10, v12, v10
	v_lshl_add_u32 v10, v10, 3, v23
	ds_read_b64 v[10:11], v10
	v_cndmask_b32_e64 v6, v12, v6, s[14:15]
	v_cndmask_b32_e64 v7, v7, v12, s[14:15]
	v_cmp_lt_u32_e32 vcc, v6, v34
	s_waitcnt lgkmcnt(0)
	v_cndmask_b32_e64 v16, v10, v14, s[14:15]
	v_cndmask_b32_e64 v17, v11, v15, s[14:15]
	;; [unrolled: 1-line block ×4, first 2 shown]
	s_and_saveexec_b64 s[18:19], vcc
	s_cbranch_execz .LBB18_96
; %bb.91:
	v_cmp_lt_u32_e32 vcc, v7, v33
	v_cmp_nlt_f32_e64 s[0:1], v16, v39
	s_and_b64 s[20:21], vcc, s[0:1]
	s_mov_b64 s[16:17], 0
	s_and_saveexec_b64 s[0:1], s[20:21]
	s_cbranch_execz .LBB18_95
; %bb.92:
	v_cmp_nlt_f32_e32 vcc, v39, v16
	s_mov_b64 s[16:17], -1
	s_and_saveexec_b64 s[20:21], vcc
; %bb.93:
	v_cmp_nlt_f32_e32 vcc, v17, v48
	s_orn2_b64 s[16:17], vcc, exec
; %bb.94:
	s_or_b64 exec, exec, s[20:21]
	s_and_b64 s[16:17], s[16:17], exec
.LBB18_95:
	s_or_b64 exec, exec, s[0:1]
	s_orn2_b64 s[16:17], s[16:17], exec
.LBB18_96:
	s_or_b64 exec, exec, s[18:19]
	v_cndmask_b32_e64 v10, v6, v7, s[16:17]
	v_cndmask_b32_e64 v11, v34, v33, s[16:17]
	v_add_u32_e32 v51, 1, v10
	v_add_u32_e32 v10, -1, v11
	v_min_u32_e32 v10, v51, v10
	v_lshl_add_u32 v10, v10, 3, v23
	ds_read_b64 v[12:13], v10
	v_cndmask_b32_e64 v6, v51, v6, s[16:17]
	v_cndmask_b32_e64 v7, v7, v51, s[16:17]
	v_cmp_lt_u32_e32 vcc, v6, v34
	s_mov_b64 s[20:21], -1
	s_waitcnt lgkmcnt(0)
	v_cndmask_b32_e64 v10, v12, v16, s[16:17]
	v_cndmask_b32_e64 v11, v13, v17, s[16:17]
	;; [unrolled: 1-line block ×4, first 2 shown]
	s_mov_b64 s[18:19], -1
	s_and_saveexec_b64 s[22:23], vcc
	s_cbranch_execz .LBB18_102
; %bb.97:
	v_cmp_lt_u32_e32 vcc, v7, v33
	v_cmp_nlt_f32_e64 s[0:1], v10, v49
	s_and_b64 s[24:25], vcc, s[0:1]
	s_mov_b64 s[18:19], 0
	s_and_saveexec_b64 s[0:1], s[24:25]
	s_cbranch_execz .LBB18_101
; %bb.98:
	v_cmp_nlt_f32_e32 vcc, v49, v10
	s_mov_b64 s[18:19], -1
	s_and_saveexec_b64 s[24:25], vcc
; %bb.99:
	v_cmp_nlt_f32_e32 vcc, v11, v50
	s_orn2_b64 s[18:19], vcc, exec
; %bb.100:
	s_or_b64 exec, exec, s[24:25]
	s_and_b64 s[18:19], s[18:19], exec
.LBB18_101:
	s_or_b64 exec, exec, s[0:1]
	s_orn2_b64 s[18:19], s[18:19], exec
.LBB18_102:
	s_or_b64 exec, exec, s[22:23]
	v_cndmask_b32_e64 v12, v6, v7, s[18:19]
	v_cndmask_b32_e64 v13, v34, v33, s[18:19]
	v_add_u32_e32 v54, 1, v12
	v_add_u32_e32 v12, -1, v13
	v_min_u32_e32 v12, v54, v12
	v_lshl_add_u32 v12, v12, 3, v23
	ds_read_b64 v[52:53], v12
	v_cndmask_b32_e64 v55, v54, v6, s[18:19]
	v_cndmask_b32_e64 v64, v7, v54, s[18:19]
	v_cmp_lt_u32_e32 vcc, v55, v34
	s_waitcnt lgkmcnt(0)
	v_cndmask_b32_e64 v12, v52, v10, s[18:19]
	v_cndmask_b32_e64 v13, v53, v11, s[18:19]
	;; [unrolled: 1-line block ×4, first 2 shown]
	s_and_saveexec_b64 s[22:23], vcc
	s_cbranch_execz .LBB18_108
; %bb.103:
	v_cmp_lt_u32_e32 vcc, v64, v33
	v_cmp_nlt_f32_e64 s[0:1], v12, v51
	s_and_b64 s[24:25], vcc, s[0:1]
	s_mov_b64 s[20:21], 0
	s_and_saveexec_b64 s[0:1], s[24:25]
	s_cbranch_execz .LBB18_107
; %bb.104:
	v_cmp_nlt_f32_e32 vcc, v51, v12
	s_mov_b64 s[20:21], -1
	s_and_saveexec_b64 s[24:25], vcc
; %bb.105:
	v_cmp_nlt_f32_e32 vcc, v13, v52
	s_orn2_b64 s[20:21], vcc, exec
; %bb.106:
	s_or_b64 exec, exec, s[24:25]
	s_and_b64 s[20:21], s[20:21], exec
.LBB18_107:
	s_or_b64 exec, exec, s[0:1]
	s_orn2_b64 s[20:21], s[20:21], exec
.LBB18_108:
	s_or_b64 exec, exec, s[22:23]
	v_cndmask_b32_e64 v6, v55, v64, s[20:21]
	v_cndmask_b32_e64 v7, v34, v33, s[20:21]
	v_add_u32_e32 v65, 1, v6
	v_add_u32_e32 v6, -1, v7
	v_min_u32_e32 v6, v65, v6
	v_lshl_add_u32 v6, v6, 3, v23
	ds_read_b64 v[66:67], v6
	v_cndmask_b32_e64 v68, v65, v55, s[20:21]
	v_cmp_lt_u32_e32 vcc, v68, v34
	s_mov_b64 s[22:23], -1
	s_mov_b64 s[24:25], -1
	s_waitcnt lgkmcnt(0)
	v_cndmask_b32_e64 v6, v66, v12, s[20:21]
	v_cndmask_b32_e64 v7, v67, v13, s[20:21]
	;; [unrolled: 1-line block ×5, first 2 shown]
	s_and_saveexec_b64 s[26:27], vcc
	s_cbranch_execz .LBB18_114
; %bb.109:
	v_cmp_lt_u32_e32 vcc, v67, v33
	v_cmp_nlt_f32_e64 s[0:1], v6, v53
	s_and_b64 s[28:29], vcc, s[0:1]
	s_mov_b64 s[24:25], 0
	s_and_saveexec_b64 s[0:1], s[28:29]
	s_cbranch_execz .LBB18_113
; %bb.110:
	v_cmp_nlt_f32_e32 vcc, v53, v6
	s_mov_b64 s[24:25], -1
	s_and_saveexec_b64 s[28:29], vcc
; %bb.111:
	v_cmp_nlt_f32_e32 vcc, v7, v54
	s_orn2_b64 s[24:25], vcc, exec
; %bb.112:
	s_or_b64 exec, exec, s[28:29]
	s_and_b64 s[24:25], s[24:25], exec
.LBB18_113:
	s_or_b64 exec, exec, s[0:1]
	s_orn2_b64 s[24:25], s[24:25], exec
.LBB18_114:
	s_or_b64 exec, exec, s[26:27]
	v_cndmask_b32_e64 v55, v68, v67, s[24:25]
	v_cndmask_b32_e64 v64, v34, v33, s[24:25]
	v_add_u32_e32 v69, 1, v55
	v_add_u32_e32 v55, -1, v64
	v_min_u32_e32 v55, v69, v55
	v_lshl_add_u32 v55, v55, 3, v23
	ds_read_b64 v[70:71], v55
	v_cndmask_b32_e64 v68, v69, v68, s[24:25]
	v_cmp_lt_u32_e32 vcc, v68, v34
	s_waitcnt lgkmcnt(0)
	v_cndmask_b32_e64 v55, v70, v6, s[24:25]
	v_cndmask_b32_e64 v64, v71, v7, s[24:25]
	;; [unrolled: 1-line block ×4, first 2 shown]
	s_and_saveexec_b64 s[26:27], vcc
	s_cbranch_execz .LBB18_120
; %bb.115:
	v_cndmask_b32_e64 v34, v67, v69, s[24:25]
	v_cmp_lt_u32_e32 vcc, v34, v33
	v_cmp_nlt_f32_e64 s[0:1], v55, v65
	s_and_b64 s[28:29], vcc, s[0:1]
	s_mov_b64 s[22:23], 0
	s_and_saveexec_b64 s[0:1], s[28:29]
	s_cbranch_execz .LBB18_119
; %bb.116:
	v_cmp_nlt_f32_e32 vcc, v65, v55
	s_mov_b64 s[22:23], -1
	s_and_saveexec_b64 s[28:29], vcc
; %bb.117:
	v_cmp_nlt_f32_e32 vcc, v64, v66
	s_orn2_b64 s[22:23], vcc, exec
; %bb.118:
	s_or_b64 exec, exec, s[28:29]
	s_and_b64 s[22:23], s[22:23], exec
.LBB18_119:
	s_or_b64 exec, exec, s[0:1]
	s_orn2_b64 s[22:23], s[22:23], exec
.LBB18_120:
	s_or_b64 exec, exec, s[26:27]
	v_cndmask_b32_e64 v7, v7, v54, s[24:25]
	v_cndmask_b32_e64 v6, v6, v53, s[24:25]
	;; [unrolled: 1-line block ×16, first 2 shown]
.LBB18_121:
	s_or_b64 exec, exec, s[2:3]
	v_and_b32_e32 v37, 0x3e0, v31
	v_or_b32_e32 v33, 16, v37
	v_min_u32_e32 v33, v28, v33
	v_add_u32_e32 v34, 16, v33
	v_min_u32_e32 v34, v28, v34
	v_and_b32_e32 v35, 24, v31
	v_min_u32_e32 v38, v28, v35
	v_sub_u32_e32 v39, v33, v37
	v_sub_u32_e32 v36, v34, v33
	v_sub_u32_e64 v36, v38, v36 clamp
	v_min_u32_e32 v39, v38, v39
	v_lshl_add_u32 v35, v37, 3, v23
	v_cmp_lt_u32_e32 vcc, v36, v39
	; wave barrier
	ds_write_b128 v29, v[0:3]
	ds_write_b128 v29, v[14:17] offset:16
	ds_write_b128 v29, v[10:13] offset:32
	ds_write_b128 v29, v[6:9] offset:48
	; wave barrier
	s_and_saveexec_b64 s[0:1], vcc
	s_cbranch_execz .LBB18_129
; %bb.122:
	v_lshlrev_b32_e32 v48, 3, v33
	v_lshlrev_b32_e32 v49, 3, v38
	v_add3_u32 v48, v23, v48, v49
	s_mov_b64 s[2:3], 0
                                        ; implicit-def: $sgpr6_sgpr7
	s_branch .LBB18_125
.LBB18_123:                             ;   in Loop: Header=BB18_125 Depth=1
	s_or_b64 exec, exec, s[16:17]
	s_andn2_b64 s[6:7], s[6:7], exec
	s_and_b64 s[14:15], s[14:15], exec
	s_or_b64 s[6:7], s[6:7], s[14:15]
.LBB18_124:                             ;   in Loop: Header=BB18_125 Depth=1
	s_or_b64 exec, exec, s[10:11]
	v_add_u32_e32 v50, 1, v49
	v_cndmask_b32_e64 v39, v39, v49, s[6:7]
	v_cndmask_b32_e64 v36, v50, v36, s[6:7]
	v_cmp_ge_u32_e32 vcc, v36, v39
	s_or_b64 s[2:3], vcc, s[2:3]
	s_andn2_b64 exec, exec, s[2:3]
	s_cbranch_execz .LBB18_128
.LBB18_125:                             ; =>This Inner Loop Header: Depth=1
	v_add_u32_e32 v49, v39, v36
	v_lshrrev_b32_e32 v49, 1, v49
	v_not_b32_e32 v51, v49
	v_lshl_add_u32 v50, v49, 3, v35
	v_lshl_add_u32 v51, v51, 3, v48
	ds_read_b32 v52, v50
	ds_read_b32 v53, v51
	s_or_b64 s[6:7], s[6:7], exec
	s_waitcnt lgkmcnt(0)
	v_cmp_nlt_f32_e32 vcc, v53, v52
	s_and_saveexec_b64 s[10:11], vcc
	s_cbranch_execz .LBB18_124
; %bb.126:                              ;   in Loop: Header=BB18_125 Depth=1
	v_cmp_nlt_f32_e32 vcc, v52, v53
	s_mov_b64 s[14:15], 0
	s_and_saveexec_b64 s[16:17], vcc
	s_cbranch_execz .LBB18_123
; %bb.127:                              ;   in Loop: Header=BB18_125 Depth=1
	ds_read_b32 v51, v51 offset:4
	ds_read_b32 v50, v50 offset:4
	s_waitcnt lgkmcnt(0)
	v_cmp_lt_f32_e32 vcc, v51, v50
	s_and_b64 s[14:15], vcc, exec
	s_branch .LBB18_123
.LBB18_128:
	s_or_b64 exec, exec, s[2:3]
.LBB18_129:
	s_or_b64 exec, exec, s[0:1]
	v_add_u32_e32 v38, v33, v38
	v_add_u32_e32 v37, v36, v37
	v_sub_u32_e32 v38, v38, v36
	v_cmp_le_u32_e32 vcc, v37, v33
	v_cmp_le_u32_e64 s[0:1], v38, v34
	s_or_b64 s[0:1], vcc, s[0:1]
	s_and_saveexec_b64 s[2:3], s[0:1]
	s_cbranch_execz .LBB18_183
; %bb.130:
	v_cmp_ge_u32_e32 vcc, v37, v33
	v_cmp_lt_u32_e64 s[0:1], v37, v33
	v_mov_b32_e32 v0, 0
	v_mov_b32_e32 v8, 0
	;; [unrolled: 1-line block ×3, first 2 shown]
	s_and_saveexec_b64 s[6:7], s[0:1]
	s_cbranch_execz .LBB18_132
; %bb.131:
	v_lshl_add_u32 v1, v36, 3, v35
	ds_read_b64 v[8:9], v1
.LBB18_132:
	s_or_b64 exec, exec, s[6:7]
	v_cmp_ge_u32_e64 s[6:7], v38, v34
	v_cmp_lt_u32_e64 s[0:1], v38, v34
	v_mov_b32_e32 v1, 0
	s_and_saveexec_b64 s[10:11], s[0:1]
	s_cbranch_execz .LBB18_134
; %bb.133:
	v_lshl_add_u32 v0, v38, 3, v23
	ds_read_b64 v[0:1], v0
.LBB18_134:
	s_or_b64 exec, exec, s[10:11]
	s_or_b64 s[0:1], vcc, s[6:7]
	s_mov_b64 s[10:11], -1
	s_xor_b64 s[14:15], s[0:1], -1
	s_and_saveexec_b64 s[0:1], s[14:15]
	s_cbranch_execz .LBB18_140
; %bb.135:
	s_waitcnt lgkmcnt(0)
	v_cmp_nlt_f32_e32 vcc, v0, v8
	s_mov_b64 s[16:17], 0
	s_and_saveexec_b64 s[14:15], vcc
	s_cbranch_execz .LBB18_139
; %bb.136:
	v_cmp_nlt_f32_e32 vcc, v8, v0
	s_mov_b64 s[16:17], -1
	s_and_saveexec_b64 s[18:19], vcc
; %bb.137:
	v_cmp_nlt_f32_e32 vcc, v1, v9
	s_orn2_b64 s[16:17], vcc, exec
; %bb.138:
	s_or_b64 exec, exec, s[18:19]
	s_and_b64 s[16:17], s[16:17], exec
.LBB18_139:
	s_or_b64 exec, exec, s[14:15]
	s_andn2_b64 s[6:7], s[6:7], exec
	s_and_b64 s[14:15], s[16:17], exec
	s_or_b64 s[6:7], s[6:7], s[14:15]
.LBB18_140:
	s_or_b64 exec, exec, s[0:1]
	v_cndmask_b32_e64 v2, v38, v37, s[6:7]
	v_cndmask_b32_e64 v3, v34, v33, s[6:7]
	v_add_u32_e32 v10, 1, v2
	v_add_u32_e32 v2, -1, v3
	v_min_u32_e32 v2, v10, v2
	v_lshl_add_u32 v2, v2, 3, v23
	ds_read_b64 v[6:7], v2
	s_waitcnt lgkmcnt(0)
	v_cndmask_b32_e64 v2, v6, v0, s[6:7]
	v_cndmask_b32_e64 v35, v8, v6, s[6:7]
	v_cndmask_b32_e64 v6, v10, v38, s[6:7]
	v_cndmask_b32_e64 v3, v7, v1, s[6:7]
	v_cndmask_b32_e64 v36, v9, v7, s[6:7]
	v_cndmask_b32_e64 v7, v37, v10, s[6:7]
	v_cmp_lt_u32_e32 vcc, v6, v34
	s_and_saveexec_b64 s[14:15], vcc
	s_cbranch_execz .LBB18_146
; %bb.141:
	v_cmp_lt_u32_e32 vcc, v7, v33
	v_cmp_nlt_f32_e64 s[0:1], v2, v35
	s_and_b64 s[16:17], vcc, s[0:1]
	s_mov_b64 s[10:11], 0
	s_and_saveexec_b64 s[0:1], s[16:17]
	s_cbranch_execz .LBB18_145
; %bb.142:
	v_cmp_nlt_f32_e32 vcc, v35, v2
	s_mov_b64 s[10:11], -1
	s_and_saveexec_b64 s[16:17], vcc
; %bb.143:
	v_cmp_nlt_f32_e32 vcc, v3, v36
	s_orn2_b64 s[10:11], vcc, exec
; %bb.144:
	s_or_b64 exec, exec, s[16:17]
	s_and_b64 s[10:11], s[10:11], exec
.LBB18_145:
	s_or_b64 exec, exec, s[0:1]
	s_orn2_b64 s[10:11], s[10:11], exec
.LBB18_146:
	s_or_b64 exec, exec, s[14:15]
	v_cndmask_b32_e64 v10, v6, v7, s[10:11]
	v_cndmask_b32_e64 v11, v34, v33, s[10:11]
	v_add_u32_e32 v12, 1, v10
	v_add_u32_e32 v10, -1, v11
	v_min_u32_e32 v10, v12, v10
	v_lshl_add_u32 v10, v10, 3, v23
	ds_read_b64 v[10:11], v10
	v_cndmask_b32_e64 v6, v12, v6, s[10:11]
	v_cndmask_b32_e64 v7, v7, v12, s[10:11]
	v_cmp_lt_u32_e32 vcc, v6, v34
	s_mov_b64 s[16:17], -1
	s_waitcnt lgkmcnt(0)
	v_cndmask_b32_e64 v14, v10, v2, s[10:11]
	v_cndmask_b32_e64 v15, v11, v3, s[10:11]
	;; [unrolled: 1-line block ×4, first 2 shown]
	s_mov_b64 s[14:15], -1
	s_and_saveexec_b64 s[18:19], vcc
	s_cbranch_execz .LBB18_152
; %bb.147:
	v_cmp_lt_u32_e32 vcc, v7, v33
	v_cmp_nlt_f32_e64 s[0:1], v14, v37
	s_and_b64 s[20:21], vcc, s[0:1]
	s_mov_b64 s[14:15], 0
	s_and_saveexec_b64 s[0:1], s[20:21]
	s_cbranch_execz .LBB18_151
; %bb.148:
	v_cmp_nlt_f32_e32 vcc, v37, v14
	s_mov_b64 s[14:15], -1
	s_and_saveexec_b64 s[20:21], vcc
; %bb.149:
	v_cmp_nlt_f32_e32 vcc, v15, v38
	s_orn2_b64 s[14:15], vcc, exec
; %bb.150:
	s_or_b64 exec, exec, s[20:21]
	s_and_b64 s[14:15], s[14:15], exec
.LBB18_151:
	s_or_b64 exec, exec, s[0:1]
	s_orn2_b64 s[14:15], s[14:15], exec
.LBB18_152:
	s_or_b64 exec, exec, s[18:19]
	v_cndmask_b32_e64 v10, v6, v7, s[14:15]
	v_cndmask_b32_e64 v11, v34, v33, s[14:15]
	v_add_u32_e32 v12, 1, v10
	v_add_u32_e32 v10, -1, v11
	v_min_u32_e32 v10, v12, v10
	v_lshl_add_u32 v10, v10, 3, v23
	ds_read_b64 v[10:11], v10
	v_cndmask_b32_e64 v6, v12, v6, s[14:15]
	v_cndmask_b32_e64 v7, v7, v12, s[14:15]
	v_cmp_lt_u32_e32 vcc, v6, v34
	s_waitcnt lgkmcnt(0)
	v_cndmask_b32_e64 v16, v10, v14, s[14:15]
	v_cndmask_b32_e64 v17, v11, v15, s[14:15]
	;; [unrolled: 1-line block ×4, first 2 shown]
	s_and_saveexec_b64 s[18:19], vcc
	s_cbranch_execz .LBB18_158
; %bb.153:
	v_cmp_lt_u32_e32 vcc, v7, v33
	v_cmp_nlt_f32_e64 s[0:1], v16, v39
	s_and_b64 s[20:21], vcc, s[0:1]
	s_mov_b64 s[16:17], 0
	s_and_saveexec_b64 s[0:1], s[20:21]
	s_cbranch_execz .LBB18_157
; %bb.154:
	v_cmp_nlt_f32_e32 vcc, v39, v16
	s_mov_b64 s[16:17], -1
	s_and_saveexec_b64 s[20:21], vcc
; %bb.155:
	v_cmp_nlt_f32_e32 vcc, v17, v48
	s_orn2_b64 s[16:17], vcc, exec
; %bb.156:
	s_or_b64 exec, exec, s[20:21]
	s_and_b64 s[16:17], s[16:17], exec
.LBB18_157:
	s_or_b64 exec, exec, s[0:1]
	s_orn2_b64 s[16:17], s[16:17], exec
.LBB18_158:
	s_or_b64 exec, exec, s[18:19]
	v_cndmask_b32_e64 v10, v6, v7, s[16:17]
	v_cndmask_b32_e64 v11, v34, v33, s[16:17]
	v_add_u32_e32 v51, 1, v10
	v_add_u32_e32 v10, -1, v11
	v_min_u32_e32 v10, v51, v10
	v_lshl_add_u32 v10, v10, 3, v23
	ds_read_b64 v[12:13], v10
	v_cndmask_b32_e64 v6, v51, v6, s[16:17]
	v_cndmask_b32_e64 v7, v7, v51, s[16:17]
	v_cmp_lt_u32_e32 vcc, v6, v34
	s_mov_b64 s[20:21], -1
	s_waitcnt lgkmcnt(0)
	v_cndmask_b32_e64 v10, v12, v16, s[16:17]
	v_cndmask_b32_e64 v11, v13, v17, s[16:17]
	;; [unrolled: 1-line block ×4, first 2 shown]
	s_mov_b64 s[18:19], -1
	s_and_saveexec_b64 s[22:23], vcc
	s_cbranch_execz .LBB18_164
; %bb.159:
	v_cmp_lt_u32_e32 vcc, v7, v33
	v_cmp_nlt_f32_e64 s[0:1], v10, v49
	s_and_b64 s[24:25], vcc, s[0:1]
	s_mov_b64 s[18:19], 0
	s_and_saveexec_b64 s[0:1], s[24:25]
	s_cbranch_execz .LBB18_163
; %bb.160:
	v_cmp_nlt_f32_e32 vcc, v49, v10
	s_mov_b64 s[18:19], -1
	s_and_saveexec_b64 s[24:25], vcc
; %bb.161:
	v_cmp_nlt_f32_e32 vcc, v11, v50
	s_orn2_b64 s[18:19], vcc, exec
; %bb.162:
	s_or_b64 exec, exec, s[24:25]
	s_and_b64 s[18:19], s[18:19], exec
.LBB18_163:
	s_or_b64 exec, exec, s[0:1]
	s_orn2_b64 s[18:19], s[18:19], exec
.LBB18_164:
	s_or_b64 exec, exec, s[22:23]
	v_cndmask_b32_e64 v12, v6, v7, s[18:19]
	v_cndmask_b32_e64 v13, v34, v33, s[18:19]
	v_add_u32_e32 v54, 1, v12
	v_add_u32_e32 v12, -1, v13
	v_min_u32_e32 v12, v54, v12
	v_lshl_add_u32 v12, v12, 3, v23
	ds_read_b64 v[52:53], v12
	v_cndmask_b32_e64 v55, v54, v6, s[18:19]
	v_cndmask_b32_e64 v64, v7, v54, s[18:19]
	v_cmp_lt_u32_e32 vcc, v55, v34
	s_waitcnt lgkmcnt(0)
	v_cndmask_b32_e64 v12, v52, v10, s[18:19]
	v_cndmask_b32_e64 v13, v53, v11, s[18:19]
	;; [unrolled: 1-line block ×4, first 2 shown]
	s_and_saveexec_b64 s[22:23], vcc
	s_cbranch_execz .LBB18_170
; %bb.165:
	v_cmp_lt_u32_e32 vcc, v64, v33
	v_cmp_nlt_f32_e64 s[0:1], v12, v51
	s_and_b64 s[24:25], vcc, s[0:1]
	s_mov_b64 s[20:21], 0
	s_and_saveexec_b64 s[0:1], s[24:25]
	s_cbranch_execz .LBB18_169
; %bb.166:
	v_cmp_nlt_f32_e32 vcc, v51, v12
	s_mov_b64 s[20:21], -1
	s_and_saveexec_b64 s[24:25], vcc
; %bb.167:
	v_cmp_nlt_f32_e32 vcc, v13, v52
	s_orn2_b64 s[20:21], vcc, exec
; %bb.168:
	s_or_b64 exec, exec, s[24:25]
	s_and_b64 s[20:21], s[20:21], exec
.LBB18_169:
	s_or_b64 exec, exec, s[0:1]
	s_orn2_b64 s[20:21], s[20:21], exec
.LBB18_170:
	s_or_b64 exec, exec, s[22:23]
	v_cndmask_b32_e64 v6, v55, v64, s[20:21]
	v_cndmask_b32_e64 v7, v34, v33, s[20:21]
	v_add_u32_e32 v65, 1, v6
	v_add_u32_e32 v6, -1, v7
	v_min_u32_e32 v6, v65, v6
	v_lshl_add_u32 v6, v6, 3, v23
	ds_read_b64 v[66:67], v6
	v_cndmask_b32_e64 v68, v65, v55, s[20:21]
	v_cmp_lt_u32_e32 vcc, v68, v34
	s_mov_b64 s[22:23], -1
	s_mov_b64 s[24:25], -1
	s_waitcnt lgkmcnt(0)
	v_cndmask_b32_e64 v6, v66, v12, s[20:21]
	v_cndmask_b32_e64 v7, v67, v13, s[20:21]
	;; [unrolled: 1-line block ×5, first 2 shown]
	s_and_saveexec_b64 s[26:27], vcc
	s_cbranch_execz .LBB18_176
; %bb.171:
	v_cmp_lt_u32_e32 vcc, v67, v33
	v_cmp_nlt_f32_e64 s[0:1], v6, v53
	s_and_b64 s[28:29], vcc, s[0:1]
	s_mov_b64 s[24:25], 0
	s_and_saveexec_b64 s[0:1], s[28:29]
	s_cbranch_execz .LBB18_175
; %bb.172:
	v_cmp_nlt_f32_e32 vcc, v53, v6
	s_mov_b64 s[24:25], -1
	s_and_saveexec_b64 s[28:29], vcc
; %bb.173:
	v_cmp_nlt_f32_e32 vcc, v7, v54
	s_orn2_b64 s[24:25], vcc, exec
; %bb.174:
	s_or_b64 exec, exec, s[28:29]
	s_and_b64 s[24:25], s[24:25], exec
.LBB18_175:
	s_or_b64 exec, exec, s[0:1]
	s_orn2_b64 s[24:25], s[24:25], exec
.LBB18_176:
	s_or_b64 exec, exec, s[26:27]
	v_cndmask_b32_e64 v55, v68, v67, s[24:25]
	v_cndmask_b32_e64 v64, v34, v33, s[24:25]
	v_add_u32_e32 v69, 1, v55
	v_add_u32_e32 v55, -1, v64
	v_min_u32_e32 v55, v69, v55
	v_lshl_add_u32 v55, v55, 3, v23
	ds_read_b64 v[70:71], v55
	v_cndmask_b32_e64 v68, v69, v68, s[24:25]
	v_cmp_lt_u32_e32 vcc, v68, v34
	s_waitcnt lgkmcnt(0)
	v_cndmask_b32_e64 v55, v70, v6, s[24:25]
	v_cndmask_b32_e64 v64, v71, v7, s[24:25]
	;; [unrolled: 1-line block ×4, first 2 shown]
	s_and_saveexec_b64 s[26:27], vcc
	s_cbranch_execz .LBB18_182
; %bb.177:
	v_cndmask_b32_e64 v34, v67, v69, s[24:25]
	v_cmp_lt_u32_e32 vcc, v34, v33
	v_cmp_nlt_f32_e64 s[0:1], v55, v65
	s_and_b64 s[28:29], vcc, s[0:1]
	s_mov_b64 s[22:23], 0
	s_and_saveexec_b64 s[0:1], s[28:29]
	s_cbranch_execz .LBB18_181
; %bb.178:
	v_cmp_nlt_f32_e32 vcc, v65, v55
	s_mov_b64 s[22:23], -1
	s_and_saveexec_b64 s[28:29], vcc
; %bb.179:
	v_cmp_nlt_f32_e32 vcc, v64, v66
	s_orn2_b64 s[22:23], vcc, exec
; %bb.180:
	s_or_b64 exec, exec, s[28:29]
	s_and_b64 s[22:23], s[22:23], exec
.LBB18_181:
	s_or_b64 exec, exec, s[0:1]
	s_orn2_b64 s[22:23], s[22:23], exec
.LBB18_182:
	s_or_b64 exec, exec, s[26:27]
	v_cndmask_b32_e64 v7, v7, v54, s[24:25]
	v_cndmask_b32_e64 v6, v6, v53, s[24:25]
	;; [unrolled: 1-line block ×16, first 2 shown]
.LBB18_183:
	s_or_b64 exec, exec, s[2:3]
	v_and_b32_e32 v37, 0x3c0, v31
	v_or_b32_e32 v33, 32, v37
	v_min_u32_e32 v33, v28, v33
	v_add_u32_e32 v34, 32, v33
	v_min_u32_e32 v34, v28, v34
	v_and_b32_e32 v35, 56, v31
	v_min_u32_e32 v38, v28, v35
	v_sub_u32_e32 v39, v33, v37
	v_sub_u32_e32 v36, v34, v33
	v_sub_u32_e64 v36, v38, v36 clamp
	v_min_u32_e32 v39, v38, v39
	v_lshl_add_u32 v35, v37, 3, v23
	v_cmp_lt_u32_e32 vcc, v36, v39
	; wave barrier
	ds_write_b128 v29, v[0:3]
	ds_write_b128 v29, v[14:17] offset:16
	ds_write_b128 v29, v[10:13] offset:32
	;; [unrolled: 1-line block ×3, first 2 shown]
	; wave barrier
	s_and_saveexec_b64 s[0:1], vcc
	s_cbranch_execz .LBB18_191
; %bb.184:
	v_lshlrev_b32_e32 v48, 3, v33
	v_lshlrev_b32_e32 v49, 3, v38
	v_add3_u32 v48, v23, v48, v49
	s_mov_b64 s[2:3], 0
                                        ; implicit-def: $sgpr6_sgpr7
	s_branch .LBB18_187
.LBB18_185:                             ;   in Loop: Header=BB18_187 Depth=1
	s_or_b64 exec, exec, s[16:17]
	s_andn2_b64 s[6:7], s[6:7], exec
	s_and_b64 s[14:15], s[14:15], exec
	s_or_b64 s[6:7], s[6:7], s[14:15]
.LBB18_186:                             ;   in Loop: Header=BB18_187 Depth=1
	s_or_b64 exec, exec, s[10:11]
	v_add_u32_e32 v50, 1, v49
	v_cndmask_b32_e64 v39, v39, v49, s[6:7]
	v_cndmask_b32_e64 v36, v50, v36, s[6:7]
	v_cmp_ge_u32_e32 vcc, v36, v39
	s_or_b64 s[2:3], vcc, s[2:3]
	s_andn2_b64 exec, exec, s[2:3]
	s_cbranch_execz .LBB18_190
.LBB18_187:                             ; =>This Inner Loop Header: Depth=1
	v_add_u32_e32 v49, v39, v36
	v_lshrrev_b32_e32 v49, 1, v49
	v_not_b32_e32 v51, v49
	v_lshl_add_u32 v50, v49, 3, v35
	v_lshl_add_u32 v51, v51, 3, v48
	ds_read_b32 v52, v50
	ds_read_b32 v53, v51
	s_or_b64 s[6:7], s[6:7], exec
	s_waitcnt lgkmcnt(0)
	v_cmp_nlt_f32_e32 vcc, v53, v52
	s_and_saveexec_b64 s[10:11], vcc
	s_cbranch_execz .LBB18_186
; %bb.188:                              ;   in Loop: Header=BB18_187 Depth=1
	v_cmp_nlt_f32_e32 vcc, v52, v53
	s_mov_b64 s[14:15], 0
	s_and_saveexec_b64 s[16:17], vcc
	s_cbranch_execz .LBB18_185
; %bb.189:                              ;   in Loop: Header=BB18_187 Depth=1
	ds_read_b32 v51, v51 offset:4
	ds_read_b32 v50, v50 offset:4
	s_waitcnt lgkmcnt(0)
	v_cmp_lt_f32_e32 vcc, v51, v50
	s_and_b64 s[14:15], vcc, exec
	s_branch .LBB18_185
.LBB18_190:
	s_or_b64 exec, exec, s[2:3]
.LBB18_191:
	s_or_b64 exec, exec, s[0:1]
	v_add_u32_e32 v38, v33, v38
	v_add_u32_e32 v37, v36, v37
	v_sub_u32_e32 v38, v38, v36
	v_cmp_le_u32_e32 vcc, v37, v33
	v_cmp_le_u32_e64 s[0:1], v38, v34
	s_or_b64 s[0:1], vcc, s[0:1]
	s_and_saveexec_b64 s[2:3], s[0:1]
	s_cbranch_execz .LBB18_245
; %bb.192:
	v_cmp_ge_u32_e32 vcc, v37, v33
	v_cmp_lt_u32_e64 s[0:1], v37, v33
	v_mov_b32_e32 v0, 0
	v_mov_b32_e32 v8, 0
	;; [unrolled: 1-line block ×3, first 2 shown]
	s_and_saveexec_b64 s[6:7], s[0:1]
	s_cbranch_execz .LBB18_194
; %bb.193:
	v_lshl_add_u32 v1, v36, 3, v35
	ds_read_b64 v[8:9], v1
.LBB18_194:
	s_or_b64 exec, exec, s[6:7]
	v_cmp_ge_u32_e64 s[6:7], v38, v34
	v_cmp_lt_u32_e64 s[0:1], v38, v34
	v_mov_b32_e32 v1, 0
	s_and_saveexec_b64 s[10:11], s[0:1]
	s_cbranch_execz .LBB18_196
; %bb.195:
	v_lshl_add_u32 v0, v38, 3, v23
	ds_read_b64 v[0:1], v0
.LBB18_196:
	s_or_b64 exec, exec, s[10:11]
	s_or_b64 s[0:1], vcc, s[6:7]
	s_mov_b64 s[10:11], -1
	s_xor_b64 s[14:15], s[0:1], -1
	s_and_saveexec_b64 s[0:1], s[14:15]
	s_cbranch_execz .LBB18_202
; %bb.197:
	s_waitcnt lgkmcnt(0)
	v_cmp_nlt_f32_e32 vcc, v0, v8
	s_mov_b64 s[16:17], 0
	s_and_saveexec_b64 s[14:15], vcc
	s_cbranch_execz .LBB18_201
; %bb.198:
	v_cmp_nlt_f32_e32 vcc, v8, v0
	s_mov_b64 s[16:17], -1
	s_and_saveexec_b64 s[18:19], vcc
; %bb.199:
	v_cmp_nlt_f32_e32 vcc, v1, v9
	s_orn2_b64 s[16:17], vcc, exec
; %bb.200:
	s_or_b64 exec, exec, s[18:19]
	s_and_b64 s[16:17], s[16:17], exec
.LBB18_201:
	s_or_b64 exec, exec, s[14:15]
	s_andn2_b64 s[6:7], s[6:7], exec
	s_and_b64 s[14:15], s[16:17], exec
	s_or_b64 s[6:7], s[6:7], s[14:15]
.LBB18_202:
	s_or_b64 exec, exec, s[0:1]
	v_cndmask_b32_e64 v2, v38, v37, s[6:7]
	v_cndmask_b32_e64 v3, v34, v33, s[6:7]
	v_add_u32_e32 v10, 1, v2
	v_add_u32_e32 v2, -1, v3
	v_min_u32_e32 v2, v10, v2
	v_lshl_add_u32 v2, v2, 3, v23
	ds_read_b64 v[6:7], v2
	s_waitcnt lgkmcnt(0)
	v_cndmask_b32_e64 v2, v6, v0, s[6:7]
	v_cndmask_b32_e64 v35, v8, v6, s[6:7]
	v_cndmask_b32_e64 v6, v10, v38, s[6:7]
	v_cndmask_b32_e64 v3, v7, v1, s[6:7]
	v_cndmask_b32_e64 v36, v9, v7, s[6:7]
	v_cndmask_b32_e64 v7, v37, v10, s[6:7]
	v_cmp_lt_u32_e32 vcc, v6, v34
	s_and_saveexec_b64 s[14:15], vcc
	s_cbranch_execz .LBB18_208
; %bb.203:
	v_cmp_lt_u32_e32 vcc, v7, v33
	v_cmp_nlt_f32_e64 s[0:1], v2, v35
	s_and_b64 s[16:17], vcc, s[0:1]
	s_mov_b64 s[10:11], 0
	s_and_saveexec_b64 s[0:1], s[16:17]
	s_cbranch_execz .LBB18_207
; %bb.204:
	v_cmp_nlt_f32_e32 vcc, v35, v2
	s_mov_b64 s[10:11], -1
	s_and_saveexec_b64 s[16:17], vcc
; %bb.205:
	v_cmp_nlt_f32_e32 vcc, v3, v36
	s_orn2_b64 s[10:11], vcc, exec
; %bb.206:
	s_or_b64 exec, exec, s[16:17]
	s_and_b64 s[10:11], s[10:11], exec
.LBB18_207:
	s_or_b64 exec, exec, s[0:1]
	s_orn2_b64 s[10:11], s[10:11], exec
.LBB18_208:
	s_or_b64 exec, exec, s[14:15]
	v_cndmask_b32_e64 v10, v6, v7, s[10:11]
	v_cndmask_b32_e64 v11, v34, v33, s[10:11]
	v_add_u32_e32 v12, 1, v10
	v_add_u32_e32 v10, -1, v11
	v_min_u32_e32 v10, v12, v10
	v_lshl_add_u32 v10, v10, 3, v23
	ds_read_b64 v[10:11], v10
	v_cndmask_b32_e64 v6, v12, v6, s[10:11]
	v_cndmask_b32_e64 v7, v7, v12, s[10:11]
	v_cmp_lt_u32_e32 vcc, v6, v34
	s_mov_b64 s[16:17], -1
	s_waitcnt lgkmcnt(0)
	v_cndmask_b32_e64 v14, v10, v2, s[10:11]
	v_cndmask_b32_e64 v15, v11, v3, s[10:11]
	;; [unrolled: 1-line block ×4, first 2 shown]
	s_mov_b64 s[14:15], -1
	s_and_saveexec_b64 s[18:19], vcc
	s_cbranch_execz .LBB18_214
; %bb.209:
	v_cmp_lt_u32_e32 vcc, v7, v33
	v_cmp_nlt_f32_e64 s[0:1], v14, v37
	s_and_b64 s[20:21], vcc, s[0:1]
	s_mov_b64 s[14:15], 0
	s_and_saveexec_b64 s[0:1], s[20:21]
	s_cbranch_execz .LBB18_213
; %bb.210:
	v_cmp_nlt_f32_e32 vcc, v37, v14
	s_mov_b64 s[14:15], -1
	s_and_saveexec_b64 s[20:21], vcc
; %bb.211:
	v_cmp_nlt_f32_e32 vcc, v15, v38
	s_orn2_b64 s[14:15], vcc, exec
; %bb.212:
	s_or_b64 exec, exec, s[20:21]
	s_and_b64 s[14:15], s[14:15], exec
.LBB18_213:
	s_or_b64 exec, exec, s[0:1]
	s_orn2_b64 s[14:15], s[14:15], exec
.LBB18_214:
	s_or_b64 exec, exec, s[18:19]
	v_cndmask_b32_e64 v10, v6, v7, s[14:15]
	v_cndmask_b32_e64 v11, v34, v33, s[14:15]
	v_add_u32_e32 v12, 1, v10
	v_add_u32_e32 v10, -1, v11
	v_min_u32_e32 v10, v12, v10
	v_lshl_add_u32 v10, v10, 3, v23
	ds_read_b64 v[10:11], v10
	v_cndmask_b32_e64 v6, v12, v6, s[14:15]
	v_cndmask_b32_e64 v7, v7, v12, s[14:15]
	v_cmp_lt_u32_e32 vcc, v6, v34
	s_waitcnt lgkmcnt(0)
	v_cndmask_b32_e64 v16, v10, v14, s[14:15]
	v_cndmask_b32_e64 v17, v11, v15, s[14:15]
	;; [unrolled: 1-line block ×4, first 2 shown]
	s_and_saveexec_b64 s[18:19], vcc
	s_cbranch_execz .LBB18_220
; %bb.215:
	v_cmp_lt_u32_e32 vcc, v7, v33
	v_cmp_nlt_f32_e64 s[0:1], v16, v39
	s_and_b64 s[20:21], vcc, s[0:1]
	s_mov_b64 s[16:17], 0
	s_and_saveexec_b64 s[0:1], s[20:21]
	s_cbranch_execz .LBB18_219
; %bb.216:
	v_cmp_nlt_f32_e32 vcc, v39, v16
	s_mov_b64 s[16:17], -1
	s_and_saveexec_b64 s[20:21], vcc
; %bb.217:
	v_cmp_nlt_f32_e32 vcc, v17, v48
	s_orn2_b64 s[16:17], vcc, exec
; %bb.218:
	s_or_b64 exec, exec, s[20:21]
	s_and_b64 s[16:17], s[16:17], exec
.LBB18_219:
	s_or_b64 exec, exec, s[0:1]
	s_orn2_b64 s[16:17], s[16:17], exec
.LBB18_220:
	s_or_b64 exec, exec, s[18:19]
	v_cndmask_b32_e64 v10, v6, v7, s[16:17]
	v_cndmask_b32_e64 v11, v34, v33, s[16:17]
	v_add_u32_e32 v51, 1, v10
	v_add_u32_e32 v10, -1, v11
	v_min_u32_e32 v10, v51, v10
	v_lshl_add_u32 v10, v10, 3, v23
	ds_read_b64 v[12:13], v10
	v_cndmask_b32_e64 v6, v51, v6, s[16:17]
	v_cndmask_b32_e64 v7, v7, v51, s[16:17]
	v_cmp_lt_u32_e32 vcc, v6, v34
	s_mov_b64 s[20:21], -1
	s_waitcnt lgkmcnt(0)
	v_cndmask_b32_e64 v10, v12, v16, s[16:17]
	v_cndmask_b32_e64 v11, v13, v17, s[16:17]
	;; [unrolled: 1-line block ×4, first 2 shown]
	s_mov_b64 s[18:19], -1
	s_and_saveexec_b64 s[22:23], vcc
	s_cbranch_execz .LBB18_226
; %bb.221:
	v_cmp_lt_u32_e32 vcc, v7, v33
	v_cmp_nlt_f32_e64 s[0:1], v10, v49
	s_and_b64 s[24:25], vcc, s[0:1]
	s_mov_b64 s[18:19], 0
	s_and_saveexec_b64 s[0:1], s[24:25]
	s_cbranch_execz .LBB18_225
; %bb.222:
	v_cmp_nlt_f32_e32 vcc, v49, v10
	s_mov_b64 s[18:19], -1
	s_and_saveexec_b64 s[24:25], vcc
; %bb.223:
	v_cmp_nlt_f32_e32 vcc, v11, v50
	s_orn2_b64 s[18:19], vcc, exec
; %bb.224:
	s_or_b64 exec, exec, s[24:25]
	s_and_b64 s[18:19], s[18:19], exec
.LBB18_225:
	s_or_b64 exec, exec, s[0:1]
	s_orn2_b64 s[18:19], s[18:19], exec
.LBB18_226:
	s_or_b64 exec, exec, s[22:23]
	v_cndmask_b32_e64 v12, v6, v7, s[18:19]
	v_cndmask_b32_e64 v13, v34, v33, s[18:19]
	v_add_u32_e32 v54, 1, v12
	v_add_u32_e32 v12, -1, v13
	v_min_u32_e32 v12, v54, v12
	v_lshl_add_u32 v12, v12, 3, v23
	ds_read_b64 v[52:53], v12
	v_cndmask_b32_e64 v55, v54, v6, s[18:19]
	v_cndmask_b32_e64 v64, v7, v54, s[18:19]
	v_cmp_lt_u32_e32 vcc, v55, v34
	s_waitcnt lgkmcnt(0)
	v_cndmask_b32_e64 v12, v52, v10, s[18:19]
	v_cndmask_b32_e64 v13, v53, v11, s[18:19]
	v_cndmask_b32_e64 v51, v49, v52, s[18:19]
	v_cndmask_b32_e64 v52, v50, v53, s[18:19]
	s_and_saveexec_b64 s[22:23], vcc
	s_cbranch_execz .LBB18_232
; %bb.227:
	v_cmp_lt_u32_e32 vcc, v64, v33
	v_cmp_nlt_f32_e64 s[0:1], v12, v51
	s_and_b64 s[24:25], vcc, s[0:1]
	s_mov_b64 s[20:21], 0
	s_and_saveexec_b64 s[0:1], s[24:25]
	s_cbranch_execz .LBB18_231
; %bb.228:
	v_cmp_nlt_f32_e32 vcc, v51, v12
	s_mov_b64 s[20:21], -1
	s_and_saveexec_b64 s[24:25], vcc
; %bb.229:
	v_cmp_nlt_f32_e32 vcc, v13, v52
	s_orn2_b64 s[20:21], vcc, exec
; %bb.230:
	s_or_b64 exec, exec, s[24:25]
	s_and_b64 s[20:21], s[20:21], exec
.LBB18_231:
	s_or_b64 exec, exec, s[0:1]
	s_orn2_b64 s[20:21], s[20:21], exec
.LBB18_232:
	s_or_b64 exec, exec, s[22:23]
	v_cndmask_b32_e64 v6, v55, v64, s[20:21]
	v_cndmask_b32_e64 v7, v34, v33, s[20:21]
	v_add_u32_e32 v65, 1, v6
	v_add_u32_e32 v6, -1, v7
	v_min_u32_e32 v6, v65, v6
	v_lshl_add_u32 v6, v6, 3, v23
	ds_read_b64 v[66:67], v6
	v_cndmask_b32_e64 v68, v65, v55, s[20:21]
	v_cmp_lt_u32_e32 vcc, v68, v34
	s_mov_b64 s[22:23], -1
	s_mov_b64 s[24:25], -1
	s_waitcnt lgkmcnt(0)
	v_cndmask_b32_e64 v6, v66, v12, s[20:21]
	v_cndmask_b32_e64 v7, v67, v13, s[20:21]
	;; [unrolled: 1-line block ×5, first 2 shown]
	s_and_saveexec_b64 s[26:27], vcc
	s_cbranch_execz .LBB18_238
; %bb.233:
	v_cmp_lt_u32_e32 vcc, v67, v33
	v_cmp_nlt_f32_e64 s[0:1], v6, v53
	s_and_b64 s[28:29], vcc, s[0:1]
	s_mov_b64 s[24:25], 0
	s_and_saveexec_b64 s[0:1], s[28:29]
	s_cbranch_execz .LBB18_237
; %bb.234:
	v_cmp_nlt_f32_e32 vcc, v53, v6
	s_mov_b64 s[24:25], -1
	s_and_saveexec_b64 s[28:29], vcc
; %bb.235:
	v_cmp_nlt_f32_e32 vcc, v7, v54
	s_orn2_b64 s[24:25], vcc, exec
; %bb.236:
	s_or_b64 exec, exec, s[28:29]
	s_and_b64 s[24:25], s[24:25], exec
.LBB18_237:
	s_or_b64 exec, exec, s[0:1]
	s_orn2_b64 s[24:25], s[24:25], exec
.LBB18_238:
	s_or_b64 exec, exec, s[26:27]
	v_cndmask_b32_e64 v55, v68, v67, s[24:25]
	v_cndmask_b32_e64 v64, v34, v33, s[24:25]
	v_add_u32_e32 v69, 1, v55
	v_add_u32_e32 v55, -1, v64
	v_min_u32_e32 v55, v69, v55
	v_lshl_add_u32 v55, v55, 3, v23
	ds_read_b64 v[70:71], v55
	v_cndmask_b32_e64 v68, v69, v68, s[24:25]
	v_cmp_lt_u32_e32 vcc, v68, v34
	s_waitcnt lgkmcnt(0)
	v_cndmask_b32_e64 v55, v70, v6, s[24:25]
	v_cndmask_b32_e64 v64, v71, v7, s[24:25]
	;; [unrolled: 1-line block ×4, first 2 shown]
	s_and_saveexec_b64 s[26:27], vcc
	s_cbranch_execz .LBB18_244
; %bb.239:
	v_cndmask_b32_e64 v34, v67, v69, s[24:25]
	v_cmp_lt_u32_e32 vcc, v34, v33
	v_cmp_nlt_f32_e64 s[0:1], v55, v65
	s_and_b64 s[28:29], vcc, s[0:1]
	s_mov_b64 s[22:23], 0
	s_and_saveexec_b64 s[0:1], s[28:29]
	s_cbranch_execz .LBB18_243
; %bb.240:
	v_cmp_nlt_f32_e32 vcc, v65, v55
	s_mov_b64 s[22:23], -1
	s_and_saveexec_b64 s[28:29], vcc
; %bb.241:
	v_cmp_nlt_f32_e32 vcc, v64, v66
	s_orn2_b64 s[22:23], vcc, exec
; %bb.242:
	s_or_b64 exec, exec, s[28:29]
	s_and_b64 s[22:23], s[22:23], exec
.LBB18_243:
	s_or_b64 exec, exec, s[0:1]
	s_orn2_b64 s[22:23], s[22:23], exec
.LBB18_244:
	s_or_b64 exec, exec, s[26:27]
	v_cndmask_b32_e64 v7, v7, v54, s[24:25]
	v_cndmask_b32_e64 v6, v6, v53, s[24:25]
	;; [unrolled: 1-line block ×16, first 2 shown]
.LBB18_245:
	s_or_b64 exec, exec, s[2:3]
	v_and_b32_e32 v34, 0x380, v31
	; wave barrier
	ds_write_b128 v29, v[0:3]
	ds_write_b128 v29, v[14:17] offset:16
	ds_write_b128 v29, v[10:13] offset:32
	;; [unrolled: 1-line block ×3, first 2 shown]
	v_or_b32_e32 v29, 64, v34
	v_min_u32_e32 v29, v28, v29
	v_add_u32_e32 v33, 64, v29
	v_min_u32_e32 v33, v28, v33
	v_and_b32_e32 v31, 0x78, v31
	v_min_u32_e32 v35, v28, v31
	v_sub_u32_e32 v36, v29, v34
	v_sub_u32_e32 v31, v33, v29
	v_sub_u32_e64 v31, v35, v31 clamp
	v_min_u32_e32 v36, v35, v36
	v_lshl_add_u32 v28, v34, 3, v23
	v_cmp_lt_u32_e32 vcc, v31, v36
	; wave barrier
	s_and_saveexec_b64 s[0:1], vcc
	s_cbranch_execz .LBB18_253
; %bb.246:
	v_lshlrev_b32_e32 v37, 3, v29
	v_lshlrev_b32_e32 v38, 3, v35
	v_add3_u32 v37, v23, v37, v38
	s_mov_b64 s[2:3], 0
                                        ; implicit-def: $sgpr6_sgpr7
	s_branch .LBB18_249
.LBB18_247:                             ;   in Loop: Header=BB18_249 Depth=1
	s_or_b64 exec, exec, s[16:17]
	s_andn2_b64 s[6:7], s[6:7], exec
	s_and_b64 s[14:15], s[14:15], exec
	s_or_b64 s[6:7], s[6:7], s[14:15]
.LBB18_248:                             ;   in Loop: Header=BB18_249 Depth=1
	s_or_b64 exec, exec, s[10:11]
	v_add_u32_e32 v39, 1, v38
	v_cndmask_b32_e64 v36, v36, v38, s[6:7]
	v_cndmask_b32_e64 v31, v39, v31, s[6:7]
	v_cmp_ge_u32_e32 vcc, v31, v36
	s_or_b64 s[2:3], vcc, s[2:3]
	s_andn2_b64 exec, exec, s[2:3]
	s_cbranch_execz .LBB18_252
.LBB18_249:                             ; =>This Inner Loop Header: Depth=1
	v_add_u32_e32 v38, v36, v31
	v_lshrrev_b32_e32 v38, 1, v38
	v_not_b32_e32 v48, v38
	v_lshl_add_u32 v39, v38, 3, v28
	v_lshl_add_u32 v48, v48, 3, v37
	ds_read_b32 v49, v39
	ds_read_b32 v50, v48
	s_or_b64 s[6:7], s[6:7], exec
	s_waitcnt lgkmcnt(0)
	v_cmp_nlt_f32_e32 vcc, v50, v49
	s_and_saveexec_b64 s[10:11], vcc
	s_cbranch_execz .LBB18_248
; %bb.250:                              ;   in Loop: Header=BB18_249 Depth=1
	v_cmp_nlt_f32_e32 vcc, v49, v50
	s_mov_b64 s[14:15], 0
	s_and_saveexec_b64 s[16:17], vcc
	s_cbranch_execz .LBB18_247
; %bb.251:                              ;   in Loop: Header=BB18_249 Depth=1
	ds_read_b32 v48, v48 offset:4
	ds_read_b32 v39, v39 offset:4
	s_waitcnt lgkmcnt(0)
	v_cmp_lt_f32_e32 vcc, v48, v39
	s_and_b64 s[14:15], vcc, exec
	s_branch .LBB18_247
.LBB18_252:
	s_or_b64 exec, exec, s[2:3]
.LBB18_253:
	s_or_b64 exec, exec, s[0:1]
	v_add_u32_e32 v35, v29, v35
	v_add_u32_e32 v34, v31, v34
	v_sub_u32_e32 v35, v35, v31
	v_cmp_le_u32_e32 vcc, v34, v29
	v_cmp_le_u32_e64 s[0:1], v35, v33
	s_or_b64 s[0:1], vcc, s[0:1]
	s_and_saveexec_b64 s[2:3], s[0:1]
	s_cbranch_execz .LBB18_307
; %bb.254:
	v_cmp_ge_u32_e32 vcc, v34, v29
	v_cmp_lt_u32_e64 s[0:1], v34, v29
	v_mov_b32_e32 v0, 0
	v_mov_b32_e32 v8, 0
	;; [unrolled: 1-line block ×3, first 2 shown]
	s_and_saveexec_b64 s[6:7], s[0:1]
	s_cbranch_execz .LBB18_256
; %bb.255:
	v_lshl_add_u32 v1, v31, 3, v28
	ds_read_b64 v[8:9], v1
.LBB18_256:
	s_or_b64 exec, exec, s[6:7]
	v_cmp_ge_u32_e64 s[6:7], v35, v33
	v_cmp_lt_u32_e64 s[0:1], v35, v33
	v_mov_b32_e32 v1, 0
	s_and_saveexec_b64 s[10:11], s[0:1]
	s_cbranch_execz .LBB18_258
; %bb.257:
	v_lshl_add_u32 v0, v35, 3, v23
	ds_read_b64 v[0:1], v0
.LBB18_258:
	s_or_b64 exec, exec, s[10:11]
	s_or_b64 s[0:1], vcc, s[6:7]
	s_mov_b64 s[10:11], -1
	s_xor_b64 s[14:15], s[0:1], -1
	s_and_saveexec_b64 s[0:1], s[14:15]
	s_cbranch_execz .LBB18_264
; %bb.259:
	s_waitcnt lgkmcnt(0)
	v_cmp_nlt_f32_e32 vcc, v0, v8
	s_mov_b64 s[16:17], 0
	s_and_saveexec_b64 s[14:15], vcc
	s_cbranch_execz .LBB18_263
; %bb.260:
	v_cmp_nlt_f32_e32 vcc, v8, v0
	s_mov_b64 s[16:17], -1
	s_and_saveexec_b64 s[18:19], vcc
; %bb.261:
	v_cmp_nlt_f32_e32 vcc, v1, v9
	s_orn2_b64 s[16:17], vcc, exec
; %bb.262:
	s_or_b64 exec, exec, s[18:19]
	s_and_b64 s[16:17], s[16:17], exec
.LBB18_263:
	s_or_b64 exec, exec, s[14:15]
	s_andn2_b64 s[6:7], s[6:7], exec
	s_and_b64 s[14:15], s[16:17], exec
	s_or_b64 s[6:7], s[6:7], s[14:15]
.LBB18_264:
	s_or_b64 exec, exec, s[0:1]
	v_cndmask_b32_e64 v2, v35, v34, s[6:7]
	v_cndmask_b32_e64 v3, v33, v29, s[6:7]
	v_add_u32_e32 v10, 1, v2
	v_add_u32_e32 v2, -1, v3
	v_min_u32_e32 v2, v10, v2
	v_lshl_add_u32 v2, v2, 3, v23
	ds_read_b64 v[6:7], v2
	s_waitcnt lgkmcnt(0)
	v_cndmask_b32_e64 v2, v6, v0, s[6:7]
	v_cndmask_b32_e64 v28, v8, v6, s[6:7]
	;; [unrolled: 1-line block ×6, first 2 shown]
	v_cmp_lt_u32_e32 vcc, v6, v33
	s_and_saveexec_b64 s[14:15], vcc
	s_cbranch_execz .LBB18_270
; %bb.265:
	v_cmp_lt_u32_e32 vcc, v7, v29
	v_cmp_nlt_f32_e64 s[0:1], v2, v28
	s_and_b64 s[16:17], vcc, s[0:1]
	s_mov_b64 s[10:11], 0
	s_and_saveexec_b64 s[0:1], s[16:17]
	s_cbranch_execz .LBB18_269
; %bb.266:
	v_cmp_nlt_f32_e32 vcc, v28, v2
	s_mov_b64 s[10:11], -1
	s_and_saveexec_b64 s[16:17], vcc
; %bb.267:
	v_cmp_nlt_f32_e32 vcc, v3, v31
	s_orn2_b64 s[10:11], vcc, exec
; %bb.268:
	s_or_b64 exec, exec, s[16:17]
	s_and_b64 s[10:11], s[10:11], exec
.LBB18_269:
	s_or_b64 exec, exec, s[0:1]
	s_orn2_b64 s[10:11], s[10:11], exec
.LBB18_270:
	s_or_b64 exec, exec, s[14:15]
	v_cndmask_b32_e64 v10, v6, v7, s[10:11]
	v_cndmask_b32_e64 v11, v33, v29, s[10:11]
	v_add_u32_e32 v12, 1, v10
	v_add_u32_e32 v10, -1, v11
	v_min_u32_e32 v10, v12, v10
	v_lshl_add_u32 v10, v10, 3, v23
	ds_read_b64 v[10:11], v10
	v_cndmask_b32_e64 v6, v12, v6, s[10:11]
	v_cndmask_b32_e64 v7, v7, v12, s[10:11]
	v_cmp_lt_u32_e32 vcc, v6, v33
	s_mov_b64 s[16:17], -1
	s_waitcnt lgkmcnt(0)
	v_cndmask_b32_e64 v14, v10, v2, s[10:11]
	v_cndmask_b32_e64 v15, v11, v3, s[10:11]
	;; [unrolled: 1-line block ×4, first 2 shown]
	s_mov_b64 s[14:15], -1
	s_and_saveexec_b64 s[18:19], vcc
	s_cbranch_execz .LBB18_276
; %bb.271:
	v_cmp_lt_u32_e32 vcc, v7, v29
	v_cmp_nlt_f32_e64 s[0:1], v14, v34
	s_and_b64 s[20:21], vcc, s[0:1]
	s_mov_b64 s[14:15], 0
	s_and_saveexec_b64 s[0:1], s[20:21]
	s_cbranch_execz .LBB18_275
; %bb.272:
	v_cmp_nlt_f32_e32 vcc, v34, v14
	s_mov_b64 s[14:15], -1
	s_and_saveexec_b64 s[20:21], vcc
; %bb.273:
	v_cmp_nlt_f32_e32 vcc, v15, v35
	s_orn2_b64 s[14:15], vcc, exec
; %bb.274:
	s_or_b64 exec, exec, s[20:21]
	s_and_b64 s[14:15], s[14:15], exec
.LBB18_275:
	s_or_b64 exec, exec, s[0:1]
	s_orn2_b64 s[14:15], s[14:15], exec
.LBB18_276:
	s_or_b64 exec, exec, s[18:19]
	v_cndmask_b32_e64 v10, v6, v7, s[14:15]
	v_cndmask_b32_e64 v11, v33, v29, s[14:15]
	v_add_u32_e32 v12, 1, v10
	v_add_u32_e32 v10, -1, v11
	v_min_u32_e32 v10, v12, v10
	v_lshl_add_u32 v10, v10, 3, v23
	ds_read_b64 v[10:11], v10
	v_cndmask_b32_e64 v6, v12, v6, s[14:15]
	v_cndmask_b32_e64 v7, v7, v12, s[14:15]
	v_cmp_lt_u32_e32 vcc, v6, v33
	s_waitcnt lgkmcnt(0)
	v_cndmask_b32_e64 v16, v10, v14, s[14:15]
	v_cndmask_b32_e64 v17, v11, v15, s[14:15]
	;; [unrolled: 1-line block ×4, first 2 shown]
	s_and_saveexec_b64 s[18:19], vcc
	s_cbranch_execz .LBB18_282
; %bb.277:
	v_cmp_lt_u32_e32 vcc, v7, v29
	v_cmp_nlt_f32_e64 s[0:1], v16, v36
	s_and_b64 s[20:21], vcc, s[0:1]
	s_mov_b64 s[16:17], 0
	s_and_saveexec_b64 s[0:1], s[20:21]
	s_cbranch_execz .LBB18_281
; %bb.278:
	v_cmp_nlt_f32_e32 vcc, v36, v16
	s_mov_b64 s[16:17], -1
	s_and_saveexec_b64 s[20:21], vcc
; %bb.279:
	v_cmp_nlt_f32_e32 vcc, v17, v37
	s_orn2_b64 s[16:17], vcc, exec
; %bb.280:
	s_or_b64 exec, exec, s[20:21]
	s_and_b64 s[16:17], s[16:17], exec
.LBB18_281:
	s_or_b64 exec, exec, s[0:1]
	s_orn2_b64 s[16:17], s[16:17], exec
.LBB18_282:
	s_or_b64 exec, exec, s[18:19]
	v_cndmask_b32_e64 v10, v6, v7, s[16:17]
	v_cndmask_b32_e64 v11, v33, v29, s[16:17]
	v_add_u32_e32 v48, 1, v10
	v_add_u32_e32 v10, -1, v11
	v_min_u32_e32 v10, v48, v10
	v_lshl_add_u32 v10, v10, 3, v23
	ds_read_b64 v[12:13], v10
	v_cndmask_b32_e64 v6, v48, v6, s[16:17]
	v_cndmask_b32_e64 v7, v7, v48, s[16:17]
	v_cmp_lt_u32_e32 vcc, v6, v33
	s_mov_b64 s[20:21], -1
	s_waitcnt lgkmcnt(0)
	v_cndmask_b32_e64 v10, v12, v16, s[16:17]
	v_cndmask_b32_e64 v11, v13, v17, s[16:17]
	;; [unrolled: 1-line block ×4, first 2 shown]
	s_mov_b64 s[18:19], -1
	s_and_saveexec_b64 s[22:23], vcc
	s_cbranch_execz .LBB18_288
; %bb.283:
	v_cmp_lt_u32_e32 vcc, v7, v29
	v_cmp_nlt_f32_e64 s[0:1], v10, v38
	s_and_b64 s[24:25], vcc, s[0:1]
	s_mov_b64 s[18:19], 0
	s_and_saveexec_b64 s[0:1], s[24:25]
	s_cbranch_execz .LBB18_287
; %bb.284:
	v_cmp_nlt_f32_e32 vcc, v38, v10
	s_mov_b64 s[18:19], -1
	s_and_saveexec_b64 s[24:25], vcc
; %bb.285:
	v_cmp_nlt_f32_e32 vcc, v11, v39
	s_orn2_b64 s[18:19], vcc, exec
; %bb.286:
	s_or_b64 exec, exec, s[24:25]
	s_and_b64 s[18:19], s[18:19], exec
.LBB18_287:
	s_or_b64 exec, exec, s[0:1]
	s_orn2_b64 s[18:19], s[18:19], exec
.LBB18_288:
	s_or_b64 exec, exec, s[22:23]
	v_cndmask_b32_e64 v12, v6, v7, s[18:19]
	v_cndmask_b32_e64 v13, v33, v29, s[18:19]
	v_add_u32_e32 v50, 1, v12
	v_add_u32_e32 v12, -1, v13
	v_min_u32_e32 v12, v50, v12
	v_lshl_add_u32 v12, v12, 3, v23
	ds_read_b64 v[48:49], v12
	v_cndmask_b32_e64 v52, v50, v6, s[18:19]
	v_cndmask_b32_e64 v53, v7, v50, s[18:19]
	v_cmp_lt_u32_e32 vcc, v52, v33
	s_waitcnt lgkmcnt(0)
	v_cndmask_b32_e64 v12, v48, v10, s[18:19]
	v_cndmask_b32_e64 v13, v49, v11, s[18:19]
	;; [unrolled: 1-line block ×4, first 2 shown]
	s_and_saveexec_b64 s[22:23], vcc
	s_cbranch_execz .LBB18_294
; %bb.289:
	v_cmp_lt_u32_e32 vcc, v53, v29
	v_cmp_nlt_f32_e64 s[0:1], v12, v48
	s_and_b64 s[24:25], vcc, s[0:1]
	s_mov_b64 s[20:21], 0
	s_and_saveexec_b64 s[0:1], s[24:25]
	s_cbranch_execz .LBB18_293
; %bb.290:
	v_cmp_nlt_f32_e32 vcc, v48, v12
	s_mov_b64 s[20:21], -1
	s_and_saveexec_b64 s[24:25], vcc
; %bb.291:
	v_cmp_nlt_f32_e32 vcc, v13, v49
	s_orn2_b64 s[20:21], vcc, exec
; %bb.292:
	s_or_b64 exec, exec, s[24:25]
	s_and_b64 s[20:21], s[20:21], exec
.LBB18_293:
	s_or_b64 exec, exec, s[0:1]
	s_orn2_b64 s[20:21], s[20:21], exec
.LBB18_294:
	s_or_b64 exec, exec, s[22:23]
	v_cndmask_b32_e64 v6, v52, v53, s[20:21]
	v_cndmask_b32_e64 v7, v33, v29, s[20:21]
	v_add_u32_e32 v54, 1, v6
	v_add_u32_e32 v6, -1, v7
	v_min_u32_e32 v6, v54, v6
	v_lshl_add_u32 v6, v6, 3, v23
	ds_read_b64 v[50:51], v6
	v_cndmask_b32_e64 v64, v54, v52, s[20:21]
	v_cndmask_b32_e64 v55, v53, v54, s[20:21]
	v_cmp_lt_u32_e32 vcc, v64, v33
	s_mov_b64 s[22:23], -1
	s_waitcnt lgkmcnt(0)
	v_cndmask_b32_e64 v6, v50, v12, s[20:21]
	v_cndmask_b32_e64 v7, v51, v13, s[20:21]
	v_cndmask_b32_e64 v50, v48, v50, s[20:21]
	v_cndmask_b32_e64 v51, v49, v51, s[20:21]
	s_mov_b64 s[24:25], -1
	s_and_saveexec_b64 s[26:27], vcc
	s_cbranch_execz .LBB18_300
; %bb.295:
	v_cmp_lt_u32_e32 vcc, v55, v29
	v_cmp_nlt_f32_e64 s[0:1], v6, v50
	s_and_b64 s[28:29], vcc, s[0:1]
	s_mov_b64 s[24:25], 0
	s_and_saveexec_b64 s[0:1], s[28:29]
	s_cbranch_execz .LBB18_299
; %bb.296:
	v_cmp_nlt_f32_e32 vcc, v50, v6
	s_mov_b64 s[24:25], -1
	s_and_saveexec_b64 s[28:29], vcc
; %bb.297:
	v_cmp_nlt_f32_e32 vcc, v7, v51
	s_orn2_b64 s[24:25], vcc, exec
; %bb.298:
	s_or_b64 exec, exec, s[28:29]
	s_and_b64 s[24:25], s[24:25], exec
.LBB18_299:
	s_or_b64 exec, exec, s[0:1]
	s_orn2_b64 s[24:25], s[24:25], exec
.LBB18_300:
	s_or_b64 exec, exec, s[26:27]
	v_cndmask_b32_e64 v52, v64, v55, s[24:25]
	v_cndmask_b32_e64 v53, v33, v29, s[24:25]
	v_add_u32_e32 v65, 1, v52
	v_add_u32_e32 v52, -1, v53
	v_min_u32_e32 v52, v65, v52
	v_lshl_add_u32 v23, v52, 3, v23
	ds_read_b64 v[66:67], v23
	v_cndmask_b32_e64 v64, v65, v64, s[24:25]
	v_cmp_lt_u32_e32 vcc, v64, v33
	s_waitcnt lgkmcnt(0)
	v_cndmask_b32_e64 v23, v66, v6, s[24:25]
	v_cndmask_b32_e64 v52, v67, v7, s[24:25]
	;; [unrolled: 1-line block ×4, first 2 shown]
	s_and_saveexec_b64 s[26:27], vcc
	s_cbranch_execz .LBB18_306
; %bb.301:
	v_cndmask_b32_e64 v33, v55, v65, s[24:25]
	v_cmp_lt_u32_e32 vcc, v33, v29
	v_cmp_nlt_f32_e64 s[0:1], v23, v53
	s_and_b64 s[28:29], vcc, s[0:1]
	s_mov_b64 s[22:23], 0
	s_and_saveexec_b64 s[0:1], s[28:29]
	s_cbranch_execz .LBB18_305
; %bb.302:
	v_cmp_nlt_f32_e32 vcc, v53, v23
	s_mov_b64 s[22:23], -1
	s_and_saveexec_b64 s[28:29], vcc
; %bb.303:
	v_cmp_nlt_f32_e32 vcc, v52, v54
	s_orn2_b64 s[22:23], vcc, exec
; %bb.304:
	s_or_b64 exec, exec, s[28:29]
	s_and_b64 s[22:23], s[22:23], exec
.LBB18_305:
	s_or_b64 exec, exec, s[0:1]
	s_orn2_b64 s[22:23], s[22:23], exec
.LBB18_306:
	s_or_b64 exec, exec, s[26:27]
	v_cndmask_b32_e64 v7, v7, v51, s[24:25]
	v_cndmask_b32_e64 v6, v6, v50, s[24:25]
	;; [unrolled: 1-line block ×16, first 2 shown]
.LBB18_307:
	s_or_b64 exec, exec, s[2:3]
	v_and_b32_e32 v33, 0x1f00, v22
	v_or_b32_e32 v29, 0x80, v33
	v_min_u32_e32 v28, 0x800, v29
	v_min_u32_e32 v29, 0x780, v29
	v_add_u32_e32 v29, 0x80, v29
	v_lshlrev_b32_e32 v23, 6, v32
	v_and_b32_e32 v34, 0xf8, v22
	v_sub_u32_e32 v35, v28, v33
	v_sub_u32_e32 v32, v29, v28
	v_sub_u32_e64 v32, v34, v32 clamp
	v_min_u32_e32 v35, v34, v35
	v_lshlrev_b32_e32 v31, 3, v33
	v_cmp_lt_u32_e32 vcc, v32, v35
	; wave barrier
	s_waitcnt lgkmcnt(0)
	s_barrier
	ds_write_b128 v23, v[0:3]
	ds_write_b128 v23, v[14:17] offset:16
	ds_write_b128 v23, v[10:13] offset:32
	;; [unrolled: 1-line block ×3, first 2 shown]
	s_waitcnt lgkmcnt(0)
	s_barrier
	s_and_saveexec_b64 s[0:1], vcc
	s_cbranch_execz .LBB18_315
; %bb.308:
	v_lshlrev_b32_e32 v36, 3, v34
	v_lshl_add_u32 v36, v28, 3, v36
	s_mov_b64 s[2:3], 0
                                        ; implicit-def: $sgpr6_sgpr7
	s_branch .LBB18_311
.LBB18_309:                             ;   in Loop: Header=BB18_311 Depth=1
	s_or_b64 exec, exec, s[16:17]
	s_andn2_b64 s[6:7], s[6:7], exec
	s_and_b64 s[14:15], s[14:15], exec
	s_or_b64 s[6:7], s[6:7], s[14:15]
.LBB18_310:                             ;   in Loop: Header=BB18_311 Depth=1
	s_or_b64 exec, exec, s[10:11]
	v_add_u32_e32 v38, 1, v37
	v_cndmask_b32_e64 v35, v35, v37, s[6:7]
	v_cndmask_b32_e64 v32, v38, v32, s[6:7]
	v_cmp_ge_u32_e32 vcc, v32, v35
	s_or_b64 s[2:3], vcc, s[2:3]
	s_andn2_b64 exec, exec, s[2:3]
	s_cbranch_execz .LBB18_314
.LBB18_311:                             ; =>This Inner Loop Header: Depth=1
	v_add_u32_e32 v37, v35, v32
	v_lshrrev_b32_e32 v37, 1, v37
	v_not_b32_e32 v39, v37
	v_lshl_add_u32 v38, v37, 3, v31
	v_lshl_add_u32 v39, v39, 3, v36
	ds_read_b32 v48, v38
	ds_read_b32 v49, v39
	s_or_b64 s[6:7], s[6:7], exec
	s_waitcnt lgkmcnt(0)
	v_cmp_nlt_f32_e32 vcc, v49, v48
	s_and_saveexec_b64 s[10:11], vcc
	s_cbranch_execz .LBB18_310
; %bb.312:                              ;   in Loop: Header=BB18_311 Depth=1
	v_cmp_nlt_f32_e32 vcc, v48, v49
	s_mov_b64 s[14:15], 0
	s_and_saveexec_b64 s[16:17], vcc
	s_cbranch_execz .LBB18_309
; %bb.313:                              ;   in Loop: Header=BB18_311 Depth=1
	ds_read_b32 v39, v39 offset:4
	ds_read_b32 v38, v38 offset:4
	s_waitcnt lgkmcnt(0)
	v_cmp_lt_f32_e32 vcc, v39, v38
	s_and_b64 s[14:15], vcc, exec
	s_branch .LBB18_309
.LBB18_314:
	s_or_b64 exec, exec, s[2:3]
.LBB18_315:
	s_or_b64 exec, exec, s[0:1]
	v_sub_u32_e32 v34, v34, v32
	v_add_u32_e32 v33, v32, v33
	v_add_u32_e32 v34, v34, v28
	v_cmp_le_u32_e32 vcc, v33, v28
	v_cmp_le_u32_e64 s[0:1], v34, v29
	s_or_b64 s[0:1], vcc, s[0:1]
	s_and_saveexec_b64 s[2:3], s[0:1]
	s_cbranch_execz .LBB18_369
; %bb.316:
	v_cmp_ge_u32_e32 vcc, v33, v28
	v_cmp_lt_u32_e64 s[0:1], v33, v28
	v_mov_b32_e32 v0, 0
	v_mov_b32_e32 v8, 0
	;; [unrolled: 1-line block ×3, first 2 shown]
	s_and_saveexec_b64 s[6:7], s[0:1]
	s_cbranch_execz .LBB18_318
; %bb.317:
	v_lshl_add_u32 v1, v32, 3, v31
	ds_read_b64 v[8:9], v1
.LBB18_318:
	s_or_b64 exec, exec, s[6:7]
	v_cmp_ge_u32_e64 s[6:7], v34, v29
	v_cmp_lt_u32_e64 s[0:1], v34, v29
	v_mov_b32_e32 v1, 0
	s_and_saveexec_b64 s[10:11], s[0:1]
	s_cbranch_execz .LBB18_320
; %bb.319:
	v_lshlrev_b32_e32 v0, 3, v34
	ds_read_b64 v[0:1], v0
.LBB18_320:
	s_or_b64 exec, exec, s[10:11]
	s_or_b64 s[0:1], vcc, s[6:7]
	s_mov_b64 s[10:11], -1
	s_xor_b64 s[14:15], s[0:1], -1
	s_and_saveexec_b64 s[0:1], s[14:15]
	s_cbranch_execz .LBB18_326
; %bb.321:
	s_waitcnt lgkmcnt(0)
	v_cmp_nlt_f32_e32 vcc, v0, v8
	s_mov_b64 s[16:17], 0
	s_and_saveexec_b64 s[14:15], vcc
	s_cbranch_execz .LBB18_325
; %bb.322:
	v_cmp_nlt_f32_e32 vcc, v8, v0
	s_mov_b64 s[16:17], -1
	s_and_saveexec_b64 s[18:19], vcc
; %bb.323:
	v_cmp_nlt_f32_e32 vcc, v1, v9
	s_orn2_b64 s[16:17], vcc, exec
; %bb.324:
	s_or_b64 exec, exec, s[18:19]
	s_and_b64 s[16:17], s[16:17], exec
.LBB18_325:
	s_or_b64 exec, exec, s[14:15]
	s_andn2_b64 s[6:7], s[6:7], exec
	s_and_b64 s[14:15], s[16:17], exec
	s_or_b64 s[6:7], s[6:7], s[14:15]
.LBB18_326:
	s_or_b64 exec, exec, s[0:1]
	v_cndmask_b32_e64 v2, v34, v33, s[6:7]
	v_cndmask_b32_e64 v3, v29, v28, s[6:7]
	v_add_u32_e32 v10, 1, v2
	v_add_u32_e32 v2, -1, v3
	v_min_u32_e32 v2, v10, v2
	v_lshlrev_b32_e32 v2, 3, v2
	ds_read_b64 v[6:7], v2
	s_waitcnt lgkmcnt(0)
	v_cndmask_b32_e64 v2, v6, v0, s[6:7]
	v_cndmask_b32_e64 v31, v8, v6, s[6:7]
	;; [unrolled: 1-line block ×6, first 2 shown]
	v_cmp_lt_u32_e32 vcc, v6, v29
	s_and_saveexec_b64 s[14:15], vcc
	s_cbranch_execz .LBB18_332
; %bb.327:
	v_cmp_lt_u32_e32 vcc, v7, v28
	v_cmp_nlt_f32_e64 s[0:1], v2, v31
	s_and_b64 s[16:17], vcc, s[0:1]
	s_mov_b64 s[10:11], 0
	s_and_saveexec_b64 s[0:1], s[16:17]
	s_cbranch_execz .LBB18_331
; %bb.328:
	v_cmp_nlt_f32_e32 vcc, v31, v2
	s_mov_b64 s[10:11], -1
	s_and_saveexec_b64 s[16:17], vcc
; %bb.329:
	v_cmp_nlt_f32_e32 vcc, v3, v32
	s_orn2_b64 s[10:11], vcc, exec
; %bb.330:
	s_or_b64 exec, exec, s[16:17]
	s_and_b64 s[10:11], s[10:11], exec
.LBB18_331:
	s_or_b64 exec, exec, s[0:1]
	s_orn2_b64 s[10:11], s[10:11], exec
.LBB18_332:
	s_or_b64 exec, exec, s[14:15]
	v_cndmask_b32_e64 v10, v6, v7, s[10:11]
	v_cndmask_b32_e64 v11, v29, v28, s[10:11]
	v_add_u32_e32 v12, 1, v10
	v_add_u32_e32 v10, -1, v11
	v_min_u32_e32 v10, v12, v10
	v_lshlrev_b32_e32 v10, 3, v10
	ds_read_b64 v[10:11], v10
	v_cndmask_b32_e64 v6, v12, v6, s[10:11]
	v_cndmask_b32_e64 v7, v7, v12, s[10:11]
	v_cmp_lt_u32_e32 vcc, v6, v29
	s_mov_b64 s[16:17], -1
	s_waitcnt lgkmcnt(0)
	v_cndmask_b32_e64 v14, v10, v2, s[10:11]
	v_cndmask_b32_e64 v15, v11, v3, s[10:11]
	;; [unrolled: 1-line block ×4, first 2 shown]
	s_mov_b64 s[14:15], -1
	s_and_saveexec_b64 s[18:19], vcc
	s_cbranch_execz .LBB18_338
; %bb.333:
	v_cmp_lt_u32_e32 vcc, v7, v28
	v_cmp_nlt_f32_e64 s[0:1], v14, v33
	s_and_b64 s[20:21], vcc, s[0:1]
	s_mov_b64 s[14:15], 0
	s_and_saveexec_b64 s[0:1], s[20:21]
	s_cbranch_execz .LBB18_337
; %bb.334:
	v_cmp_nlt_f32_e32 vcc, v33, v14
	s_mov_b64 s[14:15], -1
	s_and_saveexec_b64 s[20:21], vcc
; %bb.335:
	v_cmp_nlt_f32_e32 vcc, v15, v34
	s_orn2_b64 s[14:15], vcc, exec
; %bb.336:
	s_or_b64 exec, exec, s[20:21]
	s_and_b64 s[14:15], s[14:15], exec
.LBB18_337:
	s_or_b64 exec, exec, s[0:1]
	s_orn2_b64 s[14:15], s[14:15], exec
.LBB18_338:
	s_or_b64 exec, exec, s[18:19]
	v_cndmask_b32_e64 v10, v6, v7, s[14:15]
	v_cndmask_b32_e64 v11, v29, v28, s[14:15]
	v_add_u32_e32 v12, 1, v10
	v_add_u32_e32 v10, -1, v11
	v_min_u32_e32 v10, v12, v10
	v_lshlrev_b32_e32 v10, 3, v10
	ds_read_b64 v[10:11], v10
	v_cndmask_b32_e64 v6, v12, v6, s[14:15]
	v_cndmask_b32_e64 v7, v7, v12, s[14:15]
	v_cmp_lt_u32_e32 vcc, v6, v29
	s_waitcnt lgkmcnt(0)
	v_cndmask_b32_e64 v16, v10, v14, s[14:15]
	v_cndmask_b32_e64 v17, v11, v15, s[14:15]
	;; [unrolled: 1-line block ×4, first 2 shown]
	s_and_saveexec_b64 s[18:19], vcc
	s_cbranch_execz .LBB18_344
; %bb.339:
	v_cmp_lt_u32_e32 vcc, v7, v28
	v_cmp_nlt_f32_e64 s[0:1], v16, v35
	s_and_b64 s[20:21], vcc, s[0:1]
	s_mov_b64 s[16:17], 0
	s_and_saveexec_b64 s[0:1], s[20:21]
	s_cbranch_execz .LBB18_343
; %bb.340:
	v_cmp_nlt_f32_e32 vcc, v35, v16
	s_mov_b64 s[16:17], -1
	s_and_saveexec_b64 s[20:21], vcc
; %bb.341:
	v_cmp_nlt_f32_e32 vcc, v17, v36
	s_orn2_b64 s[16:17], vcc, exec
; %bb.342:
	s_or_b64 exec, exec, s[20:21]
	s_and_b64 s[16:17], s[16:17], exec
.LBB18_343:
	s_or_b64 exec, exec, s[0:1]
	s_orn2_b64 s[16:17], s[16:17], exec
.LBB18_344:
	s_or_b64 exec, exec, s[18:19]
	v_cndmask_b32_e64 v10, v6, v7, s[16:17]
	v_cndmask_b32_e64 v11, v29, v28, s[16:17]
	v_add_u32_e32 v39, 1, v10
	v_add_u32_e32 v10, -1, v11
	v_min_u32_e32 v10, v39, v10
	v_lshlrev_b32_e32 v10, 3, v10
	ds_read_b64 v[12:13], v10
	v_cndmask_b32_e64 v6, v39, v6, s[16:17]
	v_cndmask_b32_e64 v7, v7, v39, s[16:17]
	v_cmp_lt_u32_e32 vcc, v6, v29
	s_mov_b64 s[20:21], -1
	s_waitcnt lgkmcnt(0)
	v_cndmask_b32_e64 v10, v12, v16, s[16:17]
	v_cndmask_b32_e64 v11, v13, v17, s[16:17]
	;; [unrolled: 1-line block ×4, first 2 shown]
	s_mov_b64 s[18:19], -1
	s_and_saveexec_b64 s[22:23], vcc
	s_cbranch_execz .LBB18_350
; %bb.345:
	v_cmp_lt_u32_e32 vcc, v7, v28
	v_cmp_nlt_f32_e64 s[0:1], v10, v37
	s_and_b64 s[24:25], vcc, s[0:1]
	s_mov_b64 s[18:19], 0
	s_and_saveexec_b64 s[0:1], s[24:25]
	s_cbranch_execz .LBB18_349
; %bb.346:
	v_cmp_nlt_f32_e32 vcc, v37, v10
	s_mov_b64 s[18:19], -1
	s_and_saveexec_b64 s[24:25], vcc
; %bb.347:
	v_cmp_nlt_f32_e32 vcc, v11, v38
	s_orn2_b64 s[18:19], vcc, exec
; %bb.348:
	s_or_b64 exec, exec, s[24:25]
	s_and_b64 s[18:19], s[18:19], exec
.LBB18_349:
	s_or_b64 exec, exec, s[0:1]
	s_orn2_b64 s[18:19], s[18:19], exec
.LBB18_350:
	s_or_b64 exec, exec, s[22:23]
	v_cndmask_b32_e64 v12, v6, v7, s[18:19]
	v_cndmask_b32_e64 v13, v29, v28, s[18:19]
	v_add_u32_e32 v50, 1, v12
	v_add_u32_e32 v12, -1, v13
	v_min_u32_e32 v12, v50, v12
	v_lshlrev_b32_e32 v12, 3, v12
	ds_read_b64 v[48:49], v12
	v_cndmask_b32_e64 v51, v50, v6, s[18:19]
	v_cndmask_b32_e64 v52, v7, v50, s[18:19]
	v_cmp_lt_u32_e32 vcc, v51, v29
	s_waitcnt lgkmcnt(0)
	v_cndmask_b32_e64 v12, v48, v10, s[18:19]
	v_cndmask_b32_e64 v13, v49, v11, s[18:19]
	;; [unrolled: 1-line block ×4, first 2 shown]
	s_and_saveexec_b64 s[22:23], vcc
	s_cbranch_execz .LBB18_356
; %bb.351:
	v_cmp_lt_u32_e32 vcc, v52, v28
	v_cmp_nlt_f32_e64 s[0:1], v12, v39
	s_and_b64 s[24:25], vcc, s[0:1]
	s_mov_b64 s[20:21], 0
	s_and_saveexec_b64 s[0:1], s[24:25]
	s_cbranch_execz .LBB18_355
; %bb.352:
	v_cmp_nlt_f32_e32 vcc, v39, v12
	s_mov_b64 s[20:21], -1
	s_and_saveexec_b64 s[24:25], vcc
; %bb.353:
	v_cmp_nlt_f32_e32 vcc, v13, v48
	s_orn2_b64 s[20:21], vcc, exec
; %bb.354:
	s_or_b64 exec, exec, s[24:25]
	s_and_b64 s[20:21], s[20:21], exec
.LBB18_355:
	s_or_b64 exec, exec, s[0:1]
	s_orn2_b64 s[20:21], s[20:21], exec
.LBB18_356:
	s_or_b64 exec, exec, s[22:23]
	v_cndmask_b32_e64 v6, v51, v52, s[20:21]
	v_cndmask_b32_e64 v7, v29, v28, s[20:21]
	v_add_u32_e32 v53, 1, v6
	v_add_u32_e32 v6, -1, v7
	v_min_u32_e32 v6, v53, v6
	v_lshlrev_b32_e32 v6, 3, v6
	ds_read_b64 v[54:55], v6
	v_cndmask_b32_e64 v64, v53, v51, s[20:21]
	v_cmp_lt_u32_e32 vcc, v64, v29
	s_mov_b64 s[22:23], -1
	s_mov_b64 s[24:25], -1
	s_waitcnt lgkmcnt(0)
	v_cndmask_b32_e64 v6, v54, v12, s[20:21]
	v_cndmask_b32_e64 v7, v55, v13, s[20:21]
	;; [unrolled: 1-line block ×5, first 2 shown]
	s_and_saveexec_b64 s[26:27], vcc
	s_cbranch_execz .LBB18_362
; %bb.357:
	v_cmp_lt_u32_e32 vcc, v55, v28
	v_cmp_nlt_f32_e64 s[0:1], v6, v49
	s_and_b64 s[28:29], vcc, s[0:1]
	s_mov_b64 s[24:25], 0
	s_and_saveexec_b64 s[0:1], s[28:29]
	s_cbranch_execz .LBB18_361
; %bb.358:
	v_cmp_nlt_f32_e32 vcc, v49, v6
	s_mov_b64 s[24:25], -1
	s_and_saveexec_b64 s[28:29], vcc
; %bb.359:
	v_cmp_nlt_f32_e32 vcc, v7, v50
	s_orn2_b64 s[24:25], vcc, exec
; %bb.360:
	s_or_b64 exec, exec, s[28:29]
	s_and_b64 s[24:25], s[24:25], exec
.LBB18_361:
	s_or_b64 exec, exec, s[0:1]
	s_orn2_b64 s[24:25], s[24:25], exec
.LBB18_362:
	s_or_b64 exec, exec, s[26:27]
	v_cndmask_b32_e64 v51, v64, v55, s[24:25]
	v_cndmask_b32_e64 v52, v29, v28, s[24:25]
	v_add_u32_e32 v65, 1, v51
	v_add_u32_e32 v51, -1, v52
	v_min_u32_e32 v51, v65, v51
	v_lshlrev_b32_e32 v51, 3, v51
	ds_read_b64 v[66:67], v51
	v_cndmask_b32_e64 v64, v65, v64, s[24:25]
	v_cmp_lt_u32_e32 vcc, v64, v29
	s_waitcnt lgkmcnt(0)
	v_cndmask_b32_e64 v51, v66, v6, s[24:25]
	v_cndmask_b32_e64 v52, v67, v7, s[24:25]
	;; [unrolled: 1-line block ×4, first 2 shown]
	s_and_saveexec_b64 s[26:27], vcc
	s_cbranch_execz .LBB18_368
; %bb.363:
	v_cndmask_b32_e64 v29, v55, v65, s[24:25]
	v_cmp_lt_u32_e32 vcc, v29, v28
	v_cmp_nlt_f32_e64 s[0:1], v51, v53
	s_and_b64 s[28:29], vcc, s[0:1]
	s_mov_b64 s[22:23], 0
	s_and_saveexec_b64 s[0:1], s[28:29]
	s_cbranch_execz .LBB18_367
; %bb.364:
	v_cmp_nlt_f32_e32 vcc, v53, v51
	s_mov_b64 s[22:23], -1
	s_and_saveexec_b64 s[28:29], vcc
; %bb.365:
	v_cmp_nlt_f32_e32 vcc, v52, v54
	s_orn2_b64 s[22:23], vcc, exec
; %bb.366:
	s_or_b64 exec, exec, s[28:29]
	s_and_b64 s[22:23], s[22:23], exec
.LBB18_367:
	s_or_b64 exec, exec, s[0:1]
	s_orn2_b64 s[22:23], s[22:23], exec
.LBB18_368:
	s_or_b64 exec, exec, s[26:27]
	v_cndmask_b32_e64 v7, v7, v50, s[24:25]
	v_cndmask_b32_e64 v6, v6, v49, s[24:25]
	;; [unrolled: 1-line block ×16, first 2 shown]
.LBB18_369:
	s_or_b64 exec, exec, s[2:3]
	v_and_b32_e32 v33, 0x1e00, v22
	v_or_b32_e32 v29, 0x100, v33
	v_min_u32_e32 v28, 0x800, v29
	v_min_u32_e32 v29, 0x700, v29
	v_add_u32_e32 v29, 0x100, v29
	v_and_b32_e32 v34, 0x1f8, v22
	v_sub_u32_e32 v35, v28, v33
	v_sub_u32_e32 v32, v29, v28
	v_sub_u32_e64 v32, v34, v32 clamp
	v_min_u32_e32 v35, v34, v35
	v_lshlrev_b32_e32 v31, 3, v33
	v_cmp_lt_u32_e32 vcc, v32, v35
	s_barrier
	ds_write_b128 v23, v[0:3]
	ds_write_b128 v23, v[14:17] offset:16
	ds_write_b128 v23, v[10:13] offset:32
	ds_write_b128 v23, v[6:9] offset:48
	s_waitcnt lgkmcnt(0)
	s_barrier
	s_and_saveexec_b64 s[0:1], vcc
	s_cbranch_execz .LBB18_377
; %bb.370:
	v_lshlrev_b32_e32 v36, 3, v34
	v_lshl_add_u32 v36, v28, 3, v36
	s_mov_b64 s[2:3], 0
                                        ; implicit-def: $sgpr6_sgpr7
	s_branch .LBB18_373
.LBB18_371:                             ;   in Loop: Header=BB18_373 Depth=1
	s_or_b64 exec, exec, s[16:17]
	s_andn2_b64 s[6:7], s[6:7], exec
	s_and_b64 s[14:15], s[14:15], exec
	s_or_b64 s[6:7], s[6:7], s[14:15]
.LBB18_372:                             ;   in Loop: Header=BB18_373 Depth=1
	s_or_b64 exec, exec, s[10:11]
	v_add_u32_e32 v38, 1, v37
	v_cndmask_b32_e64 v35, v35, v37, s[6:7]
	v_cndmask_b32_e64 v32, v38, v32, s[6:7]
	v_cmp_ge_u32_e32 vcc, v32, v35
	s_or_b64 s[2:3], vcc, s[2:3]
	s_andn2_b64 exec, exec, s[2:3]
	s_cbranch_execz .LBB18_376
.LBB18_373:                             ; =>This Inner Loop Header: Depth=1
	v_add_u32_e32 v37, v35, v32
	v_lshrrev_b32_e32 v37, 1, v37
	v_not_b32_e32 v39, v37
	v_lshl_add_u32 v38, v37, 3, v31
	v_lshl_add_u32 v39, v39, 3, v36
	ds_read_b32 v48, v38
	ds_read_b32 v49, v39
	s_or_b64 s[6:7], s[6:7], exec
	s_waitcnt lgkmcnt(0)
	v_cmp_nlt_f32_e32 vcc, v49, v48
	s_and_saveexec_b64 s[10:11], vcc
	s_cbranch_execz .LBB18_372
; %bb.374:                              ;   in Loop: Header=BB18_373 Depth=1
	v_cmp_nlt_f32_e32 vcc, v48, v49
	s_mov_b64 s[14:15], 0
	s_and_saveexec_b64 s[16:17], vcc
	s_cbranch_execz .LBB18_371
; %bb.375:                              ;   in Loop: Header=BB18_373 Depth=1
	ds_read_b32 v39, v39 offset:4
	ds_read_b32 v38, v38 offset:4
	s_waitcnt lgkmcnt(0)
	v_cmp_lt_f32_e32 vcc, v39, v38
	s_and_b64 s[14:15], vcc, exec
	s_branch .LBB18_371
.LBB18_376:
	s_or_b64 exec, exec, s[2:3]
.LBB18_377:
	s_or_b64 exec, exec, s[0:1]
	v_sub_u32_e32 v34, v34, v32
	v_add_u32_e32 v33, v32, v33
	v_add_u32_e32 v34, v34, v28
	v_cmp_le_u32_e32 vcc, v33, v28
	v_cmp_le_u32_e64 s[0:1], v34, v29
	s_or_b64 s[0:1], vcc, s[0:1]
	s_and_saveexec_b64 s[2:3], s[0:1]
	s_cbranch_execz .LBB18_431
; %bb.378:
	v_cmp_ge_u32_e32 vcc, v33, v28
	v_cmp_lt_u32_e64 s[0:1], v33, v28
	v_mov_b32_e32 v0, 0
	v_mov_b32_e32 v8, 0
	;; [unrolled: 1-line block ×3, first 2 shown]
	s_and_saveexec_b64 s[6:7], s[0:1]
	s_cbranch_execz .LBB18_380
; %bb.379:
	v_lshl_add_u32 v1, v32, 3, v31
	ds_read_b64 v[8:9], v1
.LBB18_380:
	s_or_b64 exec, exec, s[6:7]
	v_cmp_ge_u32_e64 s[6:7], v34, v29
	v_cmp_lt_u32_e64 s[0:1], v34, v29
	v_mov_b32_e32 v1, 0
	s_and_saveexec_b64 s[10:11], s[0:1]
	s_cbranch_execz .LBB18_382
; %bb.381:
	v_lshlrev_b32_e32 v0, 3, v34
	ds_read_b64 v[0:1], v0
.LBB18_382:
	s_or_b64 exec, exec, s[10:11]
	s_or_b64 s[0:1], vcc, s[6:7]
	s_mov_b64 s[10:11], -1
	s_xor_b64 s[14:15], s[0:1], -1
	s_and_saveexec_b64 s[0:1], s[14:15]
	s_cbranch_execz .LBB18_388
; %bb.383:
	s_waitcnt lgkmcnt(0)
	v_cmp_nlt_f32_e32 vcc, v0, v8
	s_mov_b64 s[16:17], 0
	s_and_saveexec_b64 s[14:15], vcc
	s_cbranch_execz .LBB18_387
; %bb.384:
	v_cmp_nlt_f32_e32 vcc, v8, v0
	s_mov_b64 s[16:17], -1
	s_and_saveexec_b64 s[18:19], vcc
; %bb.385:
	v_cmp_nlt_f32_e32 vcc, v1, v9
	s_orn2_b64 s[16:17], vcc, exec
; %bb.386:
	s_or_b64 exec, exec, s[18:19]
	s_and_b64 s[16:17], s[16:17], exec
.LBB18_387:
	s_or_b64 exec, exec, s[14:15]
	s_andn2_b64 s[6:7], s[6:7], exec
	s_and_b64 s[14:15], s[16:17], exec
	s_or_b64 s[6:7], s[6:7], s[14:15]
.LBB18_388:
	s_or_b64 exec, exec, s[0:1]
	v_cndmask_b32_e64 v2, v34, v33, s[6:7]
	v_cndmask_b32_e64 v3, v29, v28, s[6:7]
	v_add_u32_e32 v10, 1, v2
	v_add_u32_e32 v2, -1, v3
	v_min_u32_e32 v2, v10, v2
	v_lshlrev_b32_e32 v2, 3, v2
	ds_read_b64 v[6:7], v2
	s_waitcnt lgkmcnt(0)
	v_cndmask_b32_e64 v2, v6, v0, s[6:7]
	v_cndmask_b32_e64 v31, v8, v6, s[6:7]
	;; [unrolled: 1-line block ×6, first 2 shown]
	v_cmp_lt_u32_e32 vcc, v6, v29
	s_and_saveexec_b64 s[14:15], vcc
	s_cbranch_execz .LBB18_394
; %bb.389:
	v_cmp_lt_u32_e32 vcc, v7, v28
	v_cmp_nlt_f32_e64 s[0:1], v2, v31
	s_and_b64 s[16:17], vcc, s[0:1]
	s_mov_b64 s[10:11], 0
	s_and_saveexec_b64 s[0:1], s[16:17]
	s_cbranch_execz .LBB18_393
; %bb.390:
	v_cmp_nlt_f32_e32 vcc, v31, v2
	s_mov_b64 s[10:11], -1
	s_and_saveexec_b64 s[16:17], vcc
; %bb.391:
	v_cmp_nlt_f32_e32 vcc, v3, v32
	s_orn2_b64 s[10:11], vcc, exec
; %bb.392:
	s_or_b64 exec, exec, s[16:17]
	s_and_b64 s[10:11], s[10:11], exec
.LBB18_393:
	s_or_b64 exec, exec, s[0:1]
	s_orn2_b64 s[10:11], s[10:11], exec
.LBB18_394:
	s_or_b64 exec, exec, s[14:15]
	v_cndmask_b32_e64 v10, v6, v7, s[10:11]
	v_cndmask_b32_e64 v11, v29, v28, s[10:11]
	v_add_u32_e32 v12, 1, v10
	v_add_u32_e32 v10, -1, v11
	v_min_u32_e32 v10, v12, v10
	v_lshlrev_b32_e32 v10, 3, v10
	ds_read_b64 v[10:11], v10
	v_cndmask_b32_e64 v6, v12, v6, s[10:11]
	v_cndmask_b32_e64 v7, v7, v12, s[10:11]
	v_cmp_lt_u32_e32 vcc, v6, v29
	s_mov_b64 s[16:17], -1
	s_waitcnt lgkmcnt(0)
	v_cndmask_b32_e64 v14, v10, v2, s[10:11]
	v_cndmask_b32_e64 v15, v11, v3, s[10:11]
	;; [unrolled: 1-line block ×4, first 2 shown]
	s_mov_b64 s[14:15], -1
	s_and_saveexec_b64 s[18:19], vcc
	s_cbranch_execz .LBB18_400
; %bb.395:
	v_cmp_lt_u32_e32 vcc, v7, v28
	v_cmp_nlt_f32_e64 s[0:1], v14, v33
	s_and_b64 s[20:21], vcc, s[0:1]
	s_mov_b64 s[14:15], 0
	s_and_saveexec_b64 s[0:1], s[20:21]
	s_cbranch_execz .LBB18_399
; %bb.396:
	v_cmp_nlt_f32_e32 vcc, v33, v14
	s_mov_b64 s[14:15], -1
	s_and_saveexec_b64 s[20:21], vcc
; %bb.397:
	v_cmp_nlt_f32_e32 vcc, v15, v34
	s_orn2_b64 s[14:15], vcc, exec
; %bb.398:
	s_or_b64 exec, exec, s[20:21]
	s_and_b64 s[14:15], s[14:15], exec
.LBB18_399:
	s_or_b64 exec, exec, s[0:1]
	s_orn2_b64 s[14:15], s[14:15], exec
.LBB18_400:
	s_or_b64 exec, exec, s[18:19]
	v_cndmask_b32_e64 v10, v6, v7, s[14:15]
	v_cndmask_b32_e64 v11, v29, v28, s[14:15]
	v_add_u32_e32 v12, 1, v10
	v_add_u32_e32 v10, -1, v11
	v_min_u32_e32 v10, v12, v10
	v_lshlrev_b32_e32 v10, 3, v10
	ds_read_b64 v[10:11], v10
	v_cndmask_b32_e64 v6, v12, v6, s[14:15]
	v_cndmask_b32_e64 v7, v7, v12, s[14:15]
	v_cmp_lt_u32_e32 vcc, v6, v29
	s_waitcnt lgkmcnt(0)
	v_cndmask_b32_e64 v16, v10, v14, s[14:15]
	v_cndmask_b32_e64 v17, v11, v15, s[14:15]
	;; [unrolled: 1-line block ×4, first 2 shown]
	s_and_saveexec_b64 s[18:19], vcc
	s_cbranch_execz .LBB18_406
; %bb.401:
	v_cmp_lt_u32_e32 vcc, v7, v28
	v_cmp_nlt_f32_e64 s[0:1], v16, v35
	s_and_b64 s[20:21], vcc, s[0:1]
	s_mov_b64 s[16:17], 0
	s_and_saveexec_b64 s[0:1], s[20:21]
	s_cbranch_execz .LBB18_405
; %bb.402:
	v_cmp_nlt_f32_e32 vcc, v35, v16
	s_mov_b64 s[16:17], -1
	s_and_saveexec_b64 s[20:21], vcc
; %bb.403:
	v_cmp_nlt_f32_e32 vcc, v17, v36
	s_orn2_b64 s[16:17], vcc, exec
; %bb.404:
	s_or_b64 exec, exec, s[20:21]
	s_and_b64 s[16:17], s[16:17], exec
.LBB18_405:
	s_or_b64 exec, exec, s[0:1]
	s_orn2_b64 s[16:17], s[16:17], exec
.LBB18_406:
	s_or_b64 exec, exec, s[18:19]
	v_cndmask_b32_e64 v10, v6, v7, s[16:17]
	v_cndmask_b32_e64 v11, v29, v28, s[16:17]
	v_add_u32_e32 v39, 1, v10
	v_add_u32_e32 v10, -1, v11
	v_min_u32_e32 v10, v39, v10
	v_lshlrev_b32_e32 v10, 3, v10
	ds_read_b64 v[12:13], v10
	v_cndmask_b32_e64 v6, v39, v6, s[16:17]
	v_cndmask_b32_e64 v7, v7, v39, s[16:17]
	v_cmp_lt_u32_e32 vcc, v6, v29
	s_mov_b64 s[20:21], -1
	s_waitcnt lgkmcnt(0)
	v_cndmask_b32_e64 v10, v12, v16, s[16:17]
	v_cndmask_b32_e64 v11, v13, v17, s[16:17]
	;; [unrolled: 1-line block ×4, first 2 shown]
	s_mov_b64 s[18:19], -1
	s_and_saveexec_b64 s[22:23], vcc
	s_cbranch_execz .LBB18_412
; %bb.407:
	v_cmp_lt_u32_e32 vcc, v7, v28
	v_cmp_nlt_f32_e64 s[0:1], v10, v37
	s_and_b64 s[24:25], vcc, s[0:1]
	s_mov_b64 s[18:19], 0
	s_and_saveexec_b64 s[0:1], s[24:25]
	s_cbranch_execz .LBB18_411
; %bb.408:
	v_cmp_nlt_f32_e32 vcc, v37, v10
	s_mov_b64 s[18:19], -1
	s_and_saveexec_b64 s[24:25], vcc
; %bb.409:
	v_cmp_nlt_f32_e32 vcc, v11, v38
	s_orn2_b64 s[18:19], vcc, exec
; %bb.410:
	s_or_b64 exec, exec, s[24:25]
	s_and_b64 s[18:19], s[18:19], exec
.LBB18_411:
	s_or_b64 exec, exec, s[0:1]
	s_orn2_b64 s[18:19], s[18:19], exec
.LBB18_412:
	s_or_b64 exec, exec, s[22:23]
	v_cndmask_b32_e64 v12, v6, v7, s[18:19]
	v_cndmask_b32_e64 v13, v29, v28, s[18:19]
	v_add_u32_e32 v50, 1, v12
	v_add_u32_e32 v12, -1, v13
	v_min_u32_e32 v12, v50, v12
	v_lshlrev_b32_e32 v12, 3, v12
	ds_read_b64 v[48:49], v12
	v_cndmask_b32_e64 v51, v50, v6, s[18:19]
	v_cndmask_b32_e64 v52, v7, v50, s[18:19]
	v_cmp_lt_u32_e32 vcc, v51, v29
	s_waitcnt lgkmcnt(0)
	v_cndmask_b32_e64 v12, v48, v10, s[18:19]
	v_cndmask_b32_e64 v13, v49, v11, s[18:19]
	;; [unrolled: 1-line block ×4, first 2 shown]
	s_and_saveexec_b64 s[22:23], vcc
	s_cbranch_execz .LBB18_418
; %bb.413:
	v_cmp_lt_u32_e32 vcc, v52, v28
	v_cmp_nlt_f32_e64 s[0:1], v12, v39
	s_and_b64 s[24:25], vcc, s[0:1]
	s_mov_b64 s[20:21], 0
	s_and_saveexec_b64 s[0:1], s[24:25]
	s_cbranch_execz .LBB18_417
; %bb.414:
	v_cmp_nlt_f32_e32 vcc, v39, v12
	s_mov_b64 s[20:21], -1
	s_and_saveexec_b64 s[24:25], vcc
; %bb.415:
	v_cmp_nlt_f32_e32 vcc, v13, v48
	s_orn2_b64 s[20:21], vcc, exec
; %bb.416:
	s_or_b64 exec, exec, s[24:25]
	s_and_b64 s[20:21], s[20:21], exec
.LBB18_417:
	s_or_b64 exec, exec, s[0:1]
	s_orn2_b64 s[20:21], s[20:21], exec
.LBB18_418:
	s_or_b64 exec, exec, s[22:23]
	v_cndmask_b32_e64 v6, v51, v52, s[20:21]
	v_cndmask_b32_e64 v7, v29, v28, s[20:21]
	v_add_u32_e32 v53, 1, v6
	v_add_u32_e32 v6, -1, v7
	v_min_u32_e32 v6, v53, v6
	v_lshlrev_b32_e32 v6, 3, v6
	ds_read_b64 v[54:55], v6
	v_cndmask_b32_e64 v64, v53, v51, s[20:21]
	v_cmp_lt_u32_e32 vcc, v64, v29
	s_mov_b64 s[22:23], -1
	s_mov_b64 s[24:25], -1
	s_waitcnt lgkmcnt(0)
	v_cndmask_b32_e64 v6, v54, v12, s[20:21]
	v_cndmask_b32_e64 v7, v55, v13, s[20:21]
	;; [unrolled: 1-line block ×5, first 2 shown]
	s_and_saveexec_b64 s[26:27], vcc
	s_cbranch_execz .LBB18_424
; %bb.419:
	v_cmp_lt_u32_e32 vcc, v55, v28
	v_cmp_nlt_f32_e64 s[0:1], v6, v49
	s_and_b64 s[28:29], vcc, s[0:1]
	s_mov_b64 s[24:25], 0
	s_and_saveexec_b64 s[0:1], s[28:29]
	s_cbranch_execz .LBB18_423
; %bb.420:
	v_cmp_nlt_f32_e32 vcc, v49, v6
	s_mov_b64 s[24:25], -1
	s_and_saveexec_b64 s[28:29], vcc
; %bb.421:
	v_cmp_nlt_f32_e32 vcc, v7, v50
	s_orn2_b64 s[24:25], vcc, exec
; %bb.422:
	s_or_b64 exec, exec, s[28:29]
	s_and_b64 s[24:25], s[24:25], exec
.LBB18_423:
	s_or_b64 exec, exec, s[0:1]
	s_orn2_b64 s[24:25], s[24:25], exec
.LBB18_424:
	s_or_b64 exec, exec, s[26:27]
	v_cndmask_b32_e64 v51, v64, v55, s[24:25]
	v_cndmask_b32_e64 v52, v29, v28, s[24:25]
	v_add_u32_e32 v65, 1, v51
	v_add_u32_e32 v51, -1, v52
	v_min_u32_e32 v51, v65, v51
	v_lshlrev_b32_e32 v51, 3, v51
	ds_read_b64 v[66:67], v51
	v_cndmask_b32_e64 v64, v65, v64, s[24:25]
	v_cmp_lt_u32_e32 vcc, v64, v29
	s_waitcnt lgkmcnt(0)
	v_cndmask_b32_e64 v51, v66, v6, s[24:25]
	v_cndmask_b32_e64 v52, v67, v7, s[24:25]
	;; [unrolled: 1-line block ×4, first 2 shown]
	s_and_saveexec_b64 s[26:27], vcc
	s_cbranch_execz .LBB18_430
; %bb.425:
	v_cndmask_b32_e64 v29, v55, v65, s[24:25]
	v_cmp_lt_u32_e32 vcc, v29, v28
	v_cmp_nlt_f32_e64 s[0:1], v51, v53
	s_and_b64 s[28:29], vcc, s[0:1]
	s_mov_b64 s[22:23], 0
	s_and_saveexec_b64 s[0:1], s[28:29]
	s_cbranch_execz .LBB18_429
; %bb.426:
	v_cmp_nlt_f32_e32 vcc, v53, v51
	s_mov_b64 s[22:23], -1
	s_and_saveexec_b64 s[28:29], vcc
; %bb.427:
	v_cmp_nlt_f32_e32 vcc, v52, v54
	s_orn2_b64 s[22:23], vcc, exec
; %bb.428:
	s_or_b64 exec, exec, s[28:29]
	s_and_b64 s[22:23], s[22:23], exec
.LBB18_429:
	s_or_b64 exec, exec, s[0:1]
	s_orn2_b64 s[22:23], s[22:23], exec
.LBB18_430:
	s_or_b64 exec, exec, s[26:27]
	v_cndmask_b32_e64 v7, v7, v50, s[24:25]
	v_cndmask_b32_e64 v6, v6, v49, s[24:25]
	;; [unrolled: 1-line block ×16, first 2 shown]
.LBB18_431:
	s_or_b64 exec, exec, s[2:3]
	v_and_b32_e32 v33, 0x1c00, v22
	v_or_b32_e32 v29, 0x200, v33
	v_min_u32_e32 v28, 0x800, v29
	v_min_u32_e32 v29, 0x600, v29
	v_add_u32_e32 v29, 0x200, v29
	v_and_b32_e32 v34, 0x3f8, v22
	v_sub_u32_e32 v35, v28, v33
	v_sub_u32_e32 v32, v29, v28
	v_sub_u32_e64 v32, v34, v32 clamp
	v_min_u32_e32 v35, v34, v35
	v_lshlrev_b32_e32 v31, 3, v33
	v_cmp_lt_u32_e32 vcc, v32, v35
	s_barrier
	ds_write_b128 v23, v[0:3]
	ds_write_b128 v23, v[14:17] offset:16
	ds_write_b128 v23, v[10:13] offset:32
	;; [unrolled: 1-line block ×3, first 2 shown]
	s_waitcnt lgkmcnt(0)
	s_barrier
	s_and_saveexec_b64 s[0:1], vcc
	s_cbranch_execz .LBB18_439
; %bb.432:
	v_lshlrev_b32_e32 v36, 3, v34
	v_lshl_add_u32 v36, v28, 3, v36
	s_mov_b64 s[2:3], 0
                                        ; implicit-def: $sgpr6_sgpr7
	s_branch .LBB18_435
.LBB18_433:                             ;   in Loop: Header=BB18_435 Depth=1
	s_or_b64 exec, exec, s[16:17]
	s_andn2_b64 s[6:7], s[6:7], exec
	s_and_b64 s[14:15], s[14:15], exec
	s_or_b64 s[6:7], s[6:7], s[14:15]
.LBB18_434:                             ;   in Loop: Header=BB18_435 Depth=1
	s_or_b64 exec, exec, s[10:11]
	v_add_u32_e32 v38, 1, v37
	v_cndmask_b32_e64 v35, v35, v37, s[6:7]
	v_cndmask_b32_e64 v32, v38, v32, s[6:7]
	v_cmp_ge_u32_e32 vcc, v32, v35
	s_or_b64 s[2:3], vcc, s[2:3]
	s_andn2_b64 exec, exec, s[2:3]
	s_cbranch_execz .LBB18_438
.LBB18_435:                             ; =>This Inner Loop Header: Depth=1
	v_add_u32_e32 v37, v35, v32
	v_lshrrev_b32_e32 v37, 1, v37
	v_not_b32_e32 v39, v37
	v_lshl_add_u32 v38, v37, 3, v31
	v_lshl_add_u32 v39, v39, 3, v36
	ds_read_b32 v48, v38
	ds_read_b32 v49, v39
	s_or_b64 s[6:7], s[6:7], exec
	s_waitcnt lgkmcnt(0)
	v_cmp_nlt_f32_e32 vcc, v49, v48
	s_and_saveexec_b64 s[10:11], vcc
	s_cbranch_execz .LBB18_434
; %bb.436:                              ;   in Loop: Header=BB18_435 Depth=1
	v_cmp_nlt_f32_e32 vcc, v48, v49
	s_mov_b64 s[14:15], 0
	s_and_saveexec_b64 s[16:17], vcc
	s_cbranch_execz .LBB18_433
; %bb.437:                              ;   in Loop: Header=BB18_435 Depth=1
	ds_read_b32 v39, v39 offset:4
	ds_read_b32 v38, v38 offset:4
	s_waitcnt lgkmcnt(0)
	v_cmp_lt_f32_e32 vcc, v39, v38
	s_and_b64 s[14:15], vcc, exec
	s_branch .LBB18_433
.LBB18_438:
	s_or_b64 exec, exec, s[2:3]
.LBB18_439:
	s_or_b64 exec, exec, s[0:1]
	v_sub_u32_e32 v34, v34, v32
	v_add_u32_e32 v33, v32, v33
	v_add_u32_e32 v34, v34, v28
	v_cmp_le_u32_e32 vcc, v33, v28
	v_cmp_le_u32_e64 s[0:1], v34, v29
	s_or_b64 s[0:1], vcc, s[0:1]
	s_and_saveexec_b64 s[2:3], s[0:1]
	s_cbranch_execz .LBB18_493
; %bb.440:
	v_cmp_ge_u32_e32 vcc, v33, v28
	v_cmp_lt_u32_e64 s[0:1], v33, v28
	v_mov_b32_e32 v0, 0
	v_mov_b32_e32 v8, 0
	;; [unrolled: 1-line block ×3, first 2 shown]
	s_and_saveexec_b64 s[6:7], s[0:1]
	s_cbranch_execz .LBB18_442
; %bb.441:
	v_lshl_add_u32 v1, v32, 3, v31
	ds_read_b64 v[8:9], v1
.LBB18_442:
	s_or_b64 exec, exec, s[6:7]
	v_cmp_ge_u32_e64 s[6:7], v34, v29
	v_cmp_lt_u32_e64 s[0:1], v34, v29
	v_mov_b32_e32 v1, 0
	s_and_saveexec_b64 s[10:11], s[0:1]
	s_cbranch_execz .LBB18_444
; %bb.443:
	v_lshlrev_b32_e32 v0, 3, v34
	ds_read_b64 v[0:1], v0
.LBB18_444:
	s_or_b64 exec, exec, s[10:11]
	s_or_b64 s[0:1], vcc, s[6:7]
	s_mov_b64 s[10:11], -1
	s_xor_b64 s[14:15], s[0:1], -1
	s_and_saveexec_b64 s[0:1], s[14:15]
	s_cbranch_execz .LBB18_450
; %bb.445:
	s_waitcnt lgkmcnt(0)
	v_cmp_nlt_f32_e32 vcc, v0, v8
	s_mov_b64 s[16:17], 0
	s_and_saveexec_b64 s[14:15], vcc
	s_cbranch_execz .LBB18_449
; %bb.446:
	v_cmp_nlt_f32_e32 vcc, v8, v0
	s_mov_b64 s[16:17], -1
	s_and_saveexec_b64 s[18:19], vcc
; %bb.447:
	v_cmp_nlt_f32_e32 vcc, v1, v9
	s_orn2_b64 s[16:17], vcc, exec
; %bb.448:
	s_or_b64 exec, exec, s[18:19]
	s_and_b64 s[16:17], s[16:17], exec
.LBB18_449:
	s_or_b64 exec, exec, s[14:15]
	s_andn2_b64 s[6:7], s[6:7], exec
	s_and_b64 s[14:15], s[16:17], exec
	s_or_b64 s[6:7], s[6:7], s[14:15]
.LBB18_450:
	s_or_b64 exec, exec, s[0:1]
	v_cndmask_b32_e64 v2, v34, v33, s[6:7]
	v_cndmask_b32_e64 v3, v29, v28, s[6:7]
	v_add_u32_e32 v10, 1, v2
	v_add_u32_e32 v2, -1, v3
	v_min_u32_e32 v2, v10, v2
	v_lshlrev_b32_e32 v2, 3, v2
	ds_read_b64 v[6:7], v2
	s_waitcnt lgkmcnt(0)
	v_cndmask_b32_e64 v2, v6, v0, s[6:7]
	v_cndmask_b32_e64 v31, v8, v6, s[6:7]
	;; [unrolled: 1-line block ×6, first 2 shown]
	v_cmp_lt_u32_e32 vcc, v6, v29
	s_and_saveexec_b64 s[14:15], vcc
	s_cbranch_execz .LBB18_456
; %bb.451:
	v_cmp_lt_u32_e32 vcc, v7, v28
	v_cmp_nlt_f32_e64 s[0:1], v2, v31
	s_and_b64 s[16:17], vcc, s[0:1]
	s_mov_b64 s[10:11], 0
	s_and_saveexec_b64 s[0:1], s[16:17]
	s_cbranch_execz .LBB18_455
; %bb.452:
	v_cmp_nlt_f32_e32 vcc, v31, v2
	s_mov_b64 s[10:11], -1
	s_and_saveexec_b64 s[16:17], vcc
; %bb.453:
	v_cmp_nlt_f32_e32 vcc, v3, v32
	s_orn2_b64 s[10:11], vcc, exec
; %bb.454:
	s_or_b64 exec, exec, s[16:17]
	s_and_b64 s[10:11], s[10:11], exec
.LBB18_455:
	s_or_b64 exec, exec, s[0:1]
	s_orn2_b64 s[10:11], s[10:11], exec
.LBB18_456:
	s_or_b64 exec, exec, s[14:15]
	v_cndmask_b32_e64 v10, v6, v7, s[10:11]
	v_cndmask_b32_e64 v11, v29, v28, s[10:11]
	v_add_u32_e32 v12, 1, v10
	v_add_u32_e32 v10, -1, v11
	v_min_u32_e32 v10, v12, v10
	v_lshlrev_b32_e32 v10, 3, v10
	ds_read_b64 v[10:11], v10
	v_cndmask_b32_e64 v6, v12, v6, s[10:11]
	v_cndmask_b32_e64 v7, v7, v12, s[10:11]
	v_cmp_lt_u32_e32 vcc, v6, v29
	s_mov_b64 s[16:17], -1
	s_waitcnt lgkmcnt(0)
	v_cndmask_b32_e64 v14, v10, v2, s[10:11]
	v_cndmask_b32_e64 v15, v11, v3, s[10:11]
	;; [unrolled: 1-line block ×4, first 2 shown]
	s_mov_b64 s[14:15], -1
	s_and_saveexec_b64 s[18:19], vcc
	s_cbranch_execz .LBB18_462
; %bb.457:
	v_cmp_lt_u32_e32 vcc, v7, v28
	v_cmp_nlt_f32_e64 s[0:1], v14, v33
	s_and_b64 s[20:21], vcc, s[0:1]
	s_mov_b64 s[14:15], 0
	s_and_saveexec_b64 s[0:1], s[20:21]
	s_cbranch_execz .LBB18_461
; %bb.458:
	v_cmp_nlt_f32_e32 vcc, v33, v14
	s_mov_b64 s[14:15], -1
	s_and_saveexec_b64 s[20:21], vcc
; %bb.459:
	v_cmp_nlt_f32_e32 vcc, v15, v34
	s_orn2_b64 s[14:15], vcc, exec
; %bb.460:
	s_or_b64 exec, exec, s[20:21]
	s_and_b64 s[14:15], s[14:15], exec
.LBB18_461:
	s_or_b64 exec, exec, s[0:1]
	s_orn2_b64 s[14:15], s[14:15], exec
.LBB18_462:
	s_or_b64 exec, exec, s[18:19]
	v_cndmask_b32_e64 v10, v6, v7, s[14:15]
	v_cndmask_b32_e64 v11, v29, v28, s[14:15]
	v_add_u32_e32 v12, 1, v10
	v_add_u32_e32 v10, -1, v11
	v_min_u32_e32 v10, v12, v10
	v_lshlrev_b32_e32 v10, 3, v10
	ds_read_b64 v[10:11], v10
	v_cndmask_b32_e64 v6, v12, v6, s[14:15]
	v_cndmask_b32_e64 v7, v7, v12, s[14:15]
	v_cmp_lt_u32_e32 vcc, v6, v29
	s_waitcnt lgkmcnt(0)
	v_cndmask_b32_e64 v16, v10, v14, s[14:15]
	v_cndmask_b32_e64 v17, v11, v15, s[14:15]
	;; [unrolled: 1-line block ×4, first 2 shown]
	s_and_saveexec_b64 s[18:19], vcc
	s_cbranch_execz .LBB18_468
; %bb.463:
	v_cmp_lt_u32_e32 vcc, v7, v28
	v_cmp_nlt_f32_e64 s[0:1], v16, v35
	s_and_b64 s[20:21], vcc, s[0:1]
	s_mov_b64 s[16:17], 0
	s_and_saveexec_b64 s[0:1], s[20:21]
	s_cbranch_execz .LBB18_467
; %bb.464:
	v_cmp_nlt_f32_e32 vcc, v35, v16
	s_mov_b64 s[16:17], -1
	s_and_saveexec_b64 s[20:21], vcc
; %bb.465:
	v_cmp_nlt_f32_e32 vcc, v17, v36
	s_orn2_b64 s[16:17], vcc, exec
; %bb.466:
	s_or_b64 exec, exec, s[20:21]
	s_and_b64 s[16:17], s[16:17], exec
.LBB18_467:
	s_or_b64 exec, exec, s[0:1]
	s_orn2_b64 s[16:17], s[16:17], exec
.LBB18_468:
	s_or_b64 exec, exec, s[18:19]
	v_cndmask_b32_e64 v10, v6, v7, s[16:17]
	v_cndmask_b32_e64 v11, v29, v28, s[16:17]
	v_add_u32_e32 v39, 1, v10
	v_add_u32_e32 v10, -1, v11
	v_min_u32_e32 v10, v39, v10
	v_lshlrev_b32_e32 v10, 3, v10
	ds_read_b64 v[12:13], v10
	v_cndmask_b32_e64 v6, v39, v6, s[16:17]
	v_cndmask_b32_e64 v7, v7, v39, s[16:17]
	v_cmp_lt_u32_e32 vcc, v6, v29
	s_mov_b64 s[20:21], -1
	s_waitcnt lgkmcnt(0)
	v_cndmask_b32_e64 v10, v12, v16, s[16:17]
	v_cndmask_b32_e64 v11, v13, v17, s[16:17]
	;; [unrolled: 1-line block ×4, first 2 shown]
	s_mov_b64 s[18:19], -1
	s_and_saveexec_b64 s[22:23], vcc
	s_cbranch_execz .LBB18_474
; %bb.469:
	v_cmp_lt_u32_e32 vcc, v7, v28
	v_cmp_nlt_f32_e64 s[0:1], v10, v37
	s_and_b64 s[24:25], vcc, s[0:1]
	s_mov_b64 s[18:19], 0
	s_and_saveexec_b64 s[0:1], s[24:25]
	s_cbranch_execz .LBB18_473
; %bb.470:
	v_cmp_nlt_f32_e32 vcc, v37, v10
	s_mov_b64 s[18:19], -1
	s_and_saveexec_b64 s[24:25], vcc
; %bb.471:
	v_cmp_nlt_f32_e32 vcc, v11, v38
	s_orn2_b64 s[18:19], vcc, exec
; %bb.472:
	s_or_b64 exec, exec, s[24:25]
	s_and_b64 s[18:19], s[18:19], exec
.LBB18_473:
	s_or_b64 exec, exec, s[0:1]
	s_orn2_b64 s[18:19], s[18:19], exec
.LBB18_474:
	s_or_b64 exec, exec, s[22:23]
	v_cndmask_b32_e64 v12, v6, v7, s[18:19]
	v_cndmask_b32_e64 v13, v29, v28, s[18:19]
	v_add_u32_e32 v50, 1, v12
	v_add_u32_e32 v12, -1, v13
	v_min_u32_e32 v12, v50, v12
	v_lshlrev_b32_e32 v12, 3, v12
	ds_read_b64 v[48:49], v12
	v_cndmask_b32_e64 v51, v50, v6, s[18:19]
	v_cndmask_b32_e64 v52, v7, v50, s[18:19]
	v_cmp_lt_u32_e32 vcc, v51, v29
	s_waitcnt lgkmcnt(0)
	v_cndmask_b32_e64 v12, v48, v10, s[18:19]
	v_cndmask_b32_e64 v13, v49, v11, s[18:19]
	;; [unrolled: 1-line block ×4, first 2 shown]
	s_and_saveexec_b64 s[22:23], vcc
	s_cbranch_execz .LBB18_480
; %bb.475:
	v_cmp_lt_u32_e32 vcc, v52, v28
	v_cmp_nlt_f32_e64 s[0:1], v12, v39
	s_and_b64 s[24:25], vcc, s[0:1]
	s_mov_b64 s[20:21], 0
	s_and_saveexec_b64 s[0:1], s[24:25]
	s_cbranch_execz .LBB18_479
; %bb.476:
	v_cmp_nlt_f32_e32 vcc, v39, v12
	s_mov_b64 s[20:21], -1
	s_and_saveexec_b64 s[24:25], vcc
; %bb.477:
	v_cmp_nlt_f32_e32 vcc, v13, v48
	s_orn2_b64 s[20:21], vcc, exec
; %bb.478:
	s_or_b64 exec, exec, s[24:25]
	s_and_b64 s[20:21], s[20:21], exec
.LBB18_479:
	s_or_b64 exec, exec, s[0:1]
	s_orn2_b64 s[20:21], s[20:21], exec
.LBB18_480:
	s_or_b64 exec, exec, s[22:23]
	v_cndmask_b32_e64 v6, v51, v52, s[20:21]
	v_cndmask_b32_e64 v7, v29, v28, s[20:21]
	v_add_u32_e32 v53, 1, v6
	v_add_u32_e32 v6, -1, v7
	v_min_u32_e32 v6, v53, v6
	v_lshlrev_b32_e32 v6, 3, v6
	ds_read_b64 v[54:55], v6
	v_cndmask_b32_e64 v64, v53, v51, s[20:21]
	v_cmp_lt_u32_e32 vcc, v64, v29
	s_mov_b64 s[22:23], -1
	s_mov_b64 s[24:25], -1
	s_waitcnt lgkmcnt(0)
	v_cndmask_b32_e64 v6, v54, v12, s[20:21]
	v_cndmask_b32_e64 v7, v55, v13, s[20:21]
	;; [unrolled: 1-line block ×5, first 2 shown]
	s_and_saveexec_b64 s[26:27], vcc
	s_cbranch_execz .LBB18_486
; %bb.481:
	v_cmp_lt_u32_e32 vcc, v55, v28
	v_cmp_nlt_f32_e64 s[0:1], v6, v49
	s_and_b64 s[28:29], vcc, s[0:1]
	s_mov_b64 s[24:25], 0
	s_and_saveexec_b64 s[0:1], s[28:29]
	s_cbranch_execz .LBB18_485
; %bb.482:
	v_cmp_nlt_f32_e32 vcc, v49, v6
	s_mov_b64 s[24:25], -1
	s_and_saveexec_b64 s[28:29], vcc
; %bb.483:
	v_cmp_nlt_f32_e32 vcc, v7, v50
	s_orn2_b64 s[24:25], vcc, exec
; %bb.484:
	s_or_b64 exec, exec, s[28:29]
	s_and_b64 s[24:25], s[24:25], exec
.LBB18_485:
	s_or_b64 exec, exec, s[0:1]
	s_orn2_b64 s[24:25], s[24:25], exec
.LBB18_486:
	s_or_b64 exec, exec, s[26:27]
	v_cndmask_b32_e64 v51, v64, v55, s[24:25]
	v_cndmask_b32_e64 v52, v29, v28, s[24:25]
	v_add_u32_e32 v65, 1, v51
	v_add_u32_e32 v51, -1, v52
	v_min_u32_e32 v51, v65, v51
	v_lshlrev_b32_e32 v51, 3, v51
	ds_read_b64 v[66:67], v51
	v_cndmask_b32_e64 v64, v65, v64, s[24:25]
	v_cmp_lt_u32_e32 vcc, v64, v29
	s_waitcnt lgkmcnt(0)
	v_cndmask_b32_e64 v51, v66, v6, s[24:25]
	v_cndmask_b32_e64 v52, v67, v7, s[24:25]
	;; [unrolled: 1-line block ×4, first 2 shown]
	s_and_saveexec_b64 s[26:27], vcc
	s_cbranch_execz .LBB18_492
; %bb.487:
	v_cndmask_b32_e64 v29, v55, v65, s[24:25]
	v_cmp_lt_u32_e32 vcc, v29, v28
	v_cmp_nlt_f32_e64 s[0:1], v51, v53
	s_and_b64 s[28:29], vcc, s[0:1]
	s_mov_b64 s[22:23], 0
	s_and_saveexec_b64 s[0:1], s[28:29]
	s_cbranch_execz .LBB18_491
; %bb.488:
	v_cmp_nlt_f32_e32 vcc, v53, v51
	s_mov_b64 s[22:23], -1
	s_and_saveexec_b64 s[28:29], vcc
; %bb.489:
	v_cmp_nlt_f32_e32 vcc, v52, v54
	s_orn2_b64 s[22:23], vcc, exec
; %bb.490:
	s_or_b64 exec, exec, s[28:29]
	s_and_b64 s[22:23], s[22:23], exec
.LBB18_491:
	s_or_b64 exec, exec, s[0:1]
	s_orn2_b64 s[22:23], s[22:23], exec
.LBB18_492:
	s_or_b64 exec, exec, s[26:27]
	v_cndmask_b32_e64 v7, v7, v50, s[24:25]
	v_cndmask_b32_e64 v6, v6, v49, s[24:25]
	;; [unrolled: 1-line block ×16, first 2 shown]
.LBB18_493:
	s_or_b64 exec, exec, s[2:3]
	v_and_b32_e32 v32, 0x1800, v22
	v_or_b32_e32 v28, 0x400, v32
	v_min_u32_e32 v28, 0x800, v28
	v_and_b32_e32 v33, 0x7f8, v22
	v_sub_u32_e32 v34, v28, v32
	v_sub_u32_e32 v31, 0x800, v28
	v_sub_u32_e64 v31, v33, v31 clamp
	v_min_u32_e32 v34, v33, v34
	v_lshlrev_b32_e32 v29, 3, v32
	v_cmp_lt_u32_e32 vcc, v31, v34
	s_barrier
	ds_write_b128 v23, v[0:3]
	ds_write_b128 v23, v[14:17] offset:16
	ds_write_b128 v23, v[10:13] offset:32
	ds_write_b128 v23, v[6:9] offset:48
	s_waitcnt lgkmcnt(0)
	s_barrier
	s_and_saveexec_b64 s[0:1], vcc
	s_cbranch_execz .LBB18_501
; %bb.494:
	v_lshlrev_b32_e32 v35, 3, v33
	v_lshl_add_u32 v35, v28, 3, v35
	s_mov_b64 s[2:3], 0
                                        ; implicit-def: $sgpr6_sgpr7
	s_branch .LBB18_497
.LBB18_495:                             ;   in Loop: Header=BB18_497 Depth=1
	s_or_b64 exec, exec, s[16:17]
	s_andn2_b64 s[6:7], s[6:7], exec
	s_and_b64 s[14:15], s[14:15], exec
	s_or_b64 s[6:7], s[6:7], s[14:15]
.LBB18_496:                             ;   in Loop: Header=BB18_497 Depth=1
	s_or_b64 exec, exec, s[10:11]
	v_add_u32_e32 v37, 1, v36
	v_cndmask_b32_e64 v34, v34, v36, s[6:7]
	v_cndmask_b32_e64 v31, v37, v31, s[6:7]
	v_cmp_ge_u32_e32 vcc, v31, v34
	s_or_b64 s[2:3], vcc, s[2:3]
	s_andn2_b64 exec, exec, s[2:3]
	s_cbranch_execz .LBB18_500
.LBB18_497:                             ; =>This Inner Loop Header: Depth=1
	v_add_u32_e32 v36, v34, v31
	v_lshrrev_b32_e32 v36, 1, v36
	v_not_b32_e32 v38, v36
	v_lshl_add_u32 v37, v36, 3, v29
	v_lshl_add_u32 v38, v38, 3, v35
	ds_read_b32 v39, v37
	ds_read_b32 v48, v38
	s_or_b64 s[6:7], s[6:7], exec
	s_waitcnt lgkmcnt(0)
	v_cmp_nlt_f32_e32 vcc, v48, v39
	s_and_saveexec_b64 s[10:11], vcc
	s_cbranch_execz .LBB18_496
; %bb.498:                              ;   in Loop: Header=BB18_497 Depth=1
	v_cmp_nlt_f32_e32 vcc, v39, v48
	s_mov_b64 s[14:15], 0
	s_and_saveexec_b64 s[16:17], vcc
	s_cbranch_execz .LBB18_495
; %bb.499:                              ;   in Loop: Header=BB18_497 Depth=1
	ds_read_b32 v38, v38 offset:4
	ds_read_b32 v37, v37 offset:4
	s_waitcnt lgkmcnt(0)
	v_cmp_lt_f32_e32 vcc, v38, v37
	s_and_b64 s[14:15], vcc, exec
	s_branch .LBB18_495
.LBB18_500:
	s_or_b64 exec, exec, s[2:3]
.LBB18_501:
	s_or_b64 exec, exec, s[0:1]
	v_sub_u32_e32 v33, v33, v31
	v_add_u32_e32 v32, v31, v32
	v_add_u32_e32 v33, v33, v28
	s_movk_i32 s0, 0x801
	v_cmp_le_u32_e32 vcc, v32, v28
	v_cmp_gt_u32_e64 s[0:1], s0, v33
	s_or_b64 s[0:1], vcc, s[0:1]
	s_and_saveexec_b64 s[2:3], s[0:1]
	s_cbranch_execz .LBB18_555
; %bb.502:
	v_cmp_ge_u32_e32 vcc, v32, v28
	v_cmp_lt_u32_e64 s[0:1], v32, v28
	v_mov_b32_e32 v0, 0
	v_mov_b32_e32 v8, 0
	;; [unrolled: 1-line block ×3, first 2 shown]
	s_and_saveexec_b64 s[6:7], s[0:1]
	s_cbranch_execz .LBB18_504
; %bb.503:
	v_lshl_add_u32 v1, v31, 3, v29
	ds_read_b64 v[8:9], v1
.LBB18_504:
	s_or_b64 exec, exec, s[6:7]
	s_movk_i32 s0, 0x7ff
	v_cmp_lt_u32_e64 s[6:7], s0, v33
	s_movk_i32 s0, 0x800
	v_cmp_gt_u32_e64 s[0:1], s0, v33
	v_mov_b32_e32 v1, 0
	s_and_saveexec_b64 s[10:11], s[0:1]
	s_cbranch_execz .LBB18_506
; %bb.505:
	v_lshlrev_b32_e32 v0, 3, v33
	ds_read_b64 v[0:1], v0
.LBB18_506:
	s_or_b64 exec, exec, s[10:11]
	s_or_b64 s[0:1], vcc, s[6:7]
	s_mov_b64 s[10:11], -1
	s_xor_b64 s[14:15], s[0:1], -1
	s_and_saveexec_b64 s[0:1], s[14:15]
	s_cbranch_execz .LBB18_512
; %bb.507:
	s_waitcnt lgkmcnt(0)
	v_cmp_nlt_f32_e32 vcc, v0, v8
	s_mov_b64 s[16:17], 0
	s_and_saveexec_b64 s[14:15], vcc
	s_cbranch_execz .LBB18_511
; %bb.508:
	v_cmp_nlt_f32_e32 vcc, v8, v0
	s_mov_b64 s[16:17], -1
	s_and_saveexec_b64 s[18:19], vcc
; %bb.509:
	v_cmp_nlt_f32_e32 vcc, v1, v9
	s_orn2_b64 s[16:17], vcc, exec
; %bb.510:
	s_or_b64 exec, exec, s[18:19]
	s_and_b64 s[16:17], s[16:17], exec
.LBB18_511:
	s_or_b64 exec, exec, s[14:15]
	s_andn2_b64 s[6:7], s[6:7], exec
	s_and_b64 s[14:15], s[16:17], exec
	s_or_b64 s[6:7], s[6:7], s[14:15]
.LBB18_512:
	s_or_b64 exec, exec, s[0:1]
	v_cndmask_b32_e64 v2, v33, v32, s[6:7]
	v_add_u32_e32 v6, -1, v28
	v_mov_b32_e32 v7, 0x7ff
	v_add_u32_e32 v12, 1, v2
	v_cndmask_b32_e64 v2, v7, v6, s[6:7]
	v_min_u32_e32 v2, v12, v2
	v_lshlrev_b32_e32 v2, 3, v2
	ds_read_b64 v[10:11], v2
	s_movk_i32 s18, 0x800
	s_waitcnt lgkmcnt(0)
	v_cndmask_b32_e64 v2, v10, v0, s[6:7]
	v_cndmask_b32_e64 v29, v8, v10, s[6:7]
	;; [unrolled: 1-line block ×6, first 2 shown]
	v_cmp_gt_u32_e32 vcc, s18, v10
	s_and_saveexec_b64 s[14:15], vcc
	s_cbranch_execz .LBB18_518
; %bb.513:
	v_cmp_lt_u32_e32 vcc, v11, v28
	v_cmp_nlt_f32_e64 s[0:1], v2, v29
	s_and_b64 s[16:17], vcc, s[0:1]
	s_mov_b64 s[10:11], 0
	s_and_saveexec_b64 s[0:1], s[16:17]
	s_cbranch_execz .LBB18_517
; %bb.514:
	v_cmp_nlt_f32_e32 vcc, v29, v2
	s_mov_b64 s[10:11], -1
	s_and_saveexec_b64 s[16:17], vcc
; %bb.515:
	v_cmp_nlt_f32_e32 vcc, v3, v31
	s_orn2_b64 s[10:11], vcc, exec
; %bb.516:
	s_or_b64 exec, exec, s[16:17]
	s_and_b64 s[10:11], s[10:11], exec
.LBB18_517:
	s_or_b64 exec, exec, s[0:1]
	s_orn2_b64 s[10:11], s[10:11], exec
.LBB18_518:
	s_or_b64 exec, exec, s[14:15]
	v_cndmask_b32_e64 v12, v10, v11, s[10:11]
	v_add_u32_e32 v16, 1, v12
	v_cndmask_b32_e64 v7, v7, v6, s[10:11]
	v_min_u32_e32 v7, v16, v7
	v_lshlrev_b32_e32 v7, 3, v7
	ds_read_b64 v[12:13], v7
	v_cndmask_b32_e64 v7, v16, v10, s[10:11]
	v_cndmask_b32_e64 v10, v11, v16, s[10:11]
	v_cmp_gt_u32_e32 vcc, s18, v7
	s_mov_b64 s[16:17], -1
	s_waitcnt lgkmcnt(0)
	v_cndmask_b32_e64 v14, v12, v2, s[10:11]
	v_cndmask_b32_e64 v15, v13, v3, s[10:11]
	;; [unrolled: 1-line block ×4, first 2 shown]
	s_mov_b64 s[14:15], -1
	s_and_saveexec_b64 s[18:19], vcc
	s_cbranch_execz .LBB18_524
; %bb.519:
	v_cmp_lt_u32_e32 vcc, v10, v28
	v_cmp_nlt_f32_e64 s[0:1], v14, v32
	s_and_b64 s[20:21], vcc, s[0:1]
	s_mov_b64 s[14:15], 0
	s_and_saveexec_b64 s[0:1], s[20:21]
	s_cbranch_execz .LBB18_523
; %bb.520:
	v_cmp_nlt_f32_e32 vcc, v32, v14
	s_mov_b64 s[14:15], -1
	s_and_saveexec_b64 s[20:21], vcc
; %bb.521:
	v_cmp_nlt_f32_e32 vcc, v15, v33
	s_orn2_b64 s[14:15], vcc, exec
; %bb.522:
	s_or_b64 exec, exec, s[20:21]
	s_and_b64 s[14:15], s[14:15], exec
.LBB18_523:
	s_or_b64 exec, exec, s[0:1]
	s_orn2_b64 s[14:15], s[14:15], exec
.LBB18_524:
	s_or_b64 exec, exec, s[18:19]
	v_cndmask_b32_e64 v11, v7, v10, s[14:15]
	v_add_u32_e32 v36, 1, v11
	v_mov_b32_e32 v11, 0x7ff
	v_cndmask_b32_e64 v12, v11, v6, s[14:15]
	v_min_u32_e32 v12, v36, v12
	v_lshlrev_b32_e32 v12, 3, v12
	ds_read_b64 v[12:13], v12
	v_cndmask_b32_e64 v7, v36, v7, s[14:15]
	s_movk_i32 s22, 0x800
	v_cmp_gt_u32_e32 vcc, s22, v7
	s_waitcnt lgkmcnt(0)
	v_cndmask_b32_e64 v16, v12, v14, s[14:15]
	v_cndmask_b32_e64 v17, v13, v15, s[14:15]
	;; [unrolled: 1-line block ×5, first 2 shown]
	s_and_saveexec_b64 s[18:19], vcc
	s_cbranch_execz .LBB18_530
; %bb.525:
	v_cmp_lt_u32_e32 vcc, v12, v28
	v_cmp_nlt_f32_e64 s[0:1], v16, v34
	s_and_b64 s[20:21], vcc, s[0:1]
	s_mov_b64 s[16:17], 0
	s_and_saveexec_b64 s[0:1], s[20:21]
	s_cbranch_execz .LBB18_529
; %bb.526:
	v_cmp_nlt_f32_e32 vcc, v34, v16
	s_mov_b64 s[16:17], -1
	s_and_saveexec_b64 s[20:21], vcc
; %bb.527:
	v_cmp_nlt_f32_e32 vcc, v17, v35
	s_orn2_b64 s[16:17], vcc, exec
; %bb.528:
	s_or_b64 exec, exec, s[20:21]
	s_and_b64 s[16:17], s[16:17], exec
.LBB18_529:
	s_or_b64 exec, exec, s[0:1]
	s_orn2_b64 s[16:17], s[16:17], exec
.LBB18_530:
	s_or_b64 exec, exec, s[18:19]
	v_cndmask_b32_e64 v10, v7, v12, s[16:17]
	v_add_u32_e32 v13, 1, v10
	v_cndmask_b32_e64 v10, v11, v6, s[16:17]
	v_min_u32_e32 v10, v13, v10
	v_lshlrev_b32_e32 v10, 3, v10
	ds_read_b64 v[36:37], v10
	v_cndmask_b32_e64 v7, v13, v7, s[16:17]
	v_cndmask_b32_e64 v48, v12, v13, s[16:17]
	v_cmp_gt_u32_e32 vcc, s22, v7
	s_mov_b64 s[20:21], -1
	s_waitcnt lgkmcnt(0)
	v_cndmask_b32_e64 v10, v36, v16, s[16:17]
	v_cndmask_b32_e64 v11, v37, v17, s[16:17]
	;; [unrolled: 1-line block ×4, first 2 shown]
	s_mov_b64 s[18:19], -1
	s_and_saveexec_b64 s[22:23], vcc
	s_cbranch_execz .LBB18_536
; %bb.531:
	v_cmp_lt_u32_e32 vcc, v48, v28
	v_cmp_nlt_f32_e64 s[0:1], v10, v36
	s_and_b64 s[24:25], vcc, s[0:1]
	s_mov_b64 s[18:19], 0
	s_and_saveexec_b64 s[0:1], s[24:25]
	s_cbranch_execz .LBB18_535
; %bb.532:
	v_cmp_nlt_f32_e32 vcc, v36, v10
	s_mov_b64 s[18:19], -1
	s_and_saveexec_b64 s[24:25], vcc
; %bb.533:
	v_cmp_nlt_f32_e32 vcc, v11, v37
	s_orn2_b64 s[18:19], vcc, exec
; %bb.534:
	s_or_b64 exec, exec, s[24:25]
	s_and_b64 s[18:19], s[18:19], exec
.LBB18_535:
	s_or_b64 exec, exec, s[0:1]
	s_orn2_b64 s[18:19], s[18:19], exec
.LBB18_536:
	s_or_b64 exec, exec, s[22:23]
	v_cndmask_b32_e64 v12, v7, v48, s[18:19]
	v_mov_b32_e32 v49, 0x7ff
	v_add_u32_e32 v50, 1, v12
	v_cndmask_b32_e64 v12, v49, v6, s[18:19]
	v_min_u32_e32 v12, v50, v12
	v_lshlrev_b32_e32 v12, 3, v12
	ds_read_b64 v[38:39], v12
	v_cndmask_b32_e64 v51, v50, v7, s[18:19]
	s_movk_i32 s26, 0x800
	v_cndmask_b32_e64 v52, v48, v50, s[18:19]
	v_cmp_gt_u32_e32 vcc, s26, v51
	s_waitcnt lgkmcnt(0)
	v_cndmask_b32_e64 v12, v38, v10, s[18:19]
	v_cndmask_b32_e64 v13, v39, v11, s[18:19]
	;; [unrolled: 1-line block ×4, first 2 shown]
	s_and_saveexec_b64 s[22:23], vcc
	s_cbranch_execz .LBB18_542
; %bb.537:
	v_cmp_lt_u32_e32 vcc, v52, v28
	v_cmp_nlt_f32_e64 s[0:1], v12, v38
	s_and_b64 s[24:25], vcc, s[0:1]
	s_mov_b64 s[20:21], 0
	s_and_saveexec_b64 s[0:1], s[24:25]
	s_cbranch_execz .LBB18_541
; %bb.538:
	v_cmp_nlt_f32_e32 vcc, v38, v12
	s_mov_b64 s[20:21], -1
	s_and_saveexec_b64 s[24:25], vcc
; %bb.539:
	v_cmp_nlt_f32_e32 vcc, v13, v39
	s_orn2_b64 s[20:21], vcc, exec
; %bb.540:
	s_or_b64 exec, exec, s[24:25]
	s_and_b64 s[20:21], s[20:21], exec
.LBB18_541:
	s_or_b64 exec, exec, s[0:1]
	s_orn2_b64 s[20:21], s[20:21], exec
.LBB18_542:
	s_or_b64 exec, exec, s[22:23]
	v_cndmask_b32_e64 v7, v51, v52, s[20:21]
	v_add_u32_e32 v53, 1, v7
	v_cndmask_b32_e64 v7, v49, v6, s[20:21]
	v_min_u32_e32 v7, v53, v7
	v_lshlrev_b32_e32 v7, 3, v7
	ds_read_b64 v[54:55], v7
	v_cndmask_b32_e64 v64, v53, v51, s[20:21]
	v_cmp_gt_u32_e32 vcc, s26, v64
	s_mov_b64 s[22:23], -1
	s_mov_b64 s[24:25], -1
	s_waitcnt lgkmcnt(0)
	v_cndmask_b32_e64 v48, v54, v12, s[20:21]
	v_cndmask_b32_e64 v7, v55, v13, s[20:21]
	;; [unrolled: 1-line block ×5, first 2 shown]
	s_and_saveexec_b64 s[26:27], vcc
	s_cbranch_execz .LBB18_548
; %bb.543:
	v_cmp_lt_u32_e32 vcc, v55, v28
	v_cmp_nlt_f32_e64 s[0:1], v48, v49
	s_and_b64 s[28:29], vcc, s[0:1]
	s_mov_b64 s[24:25], 0
	s_and_saveexec_b64 s[0:1], s[28:29]
	s_cbranch_execz .LBB18_547
; %bb.544:
	v_cmp_nlt_f32_e32 vcc, v49, v48
	s_mov_b64 s[24:25], -1
	s_and_saveexec_b64 s[28:29], vcc
; %bb.545:
	v_cmp_nlt_f32_e32 vcc, v7, v50
	s_orn2_b64 s[24:25], vcc, exec
; %bb.546:
	s_or_b64 exec, exec, s[28:29]
	s_and_b64 s[24:25], s[24:25], exec
.LBB18_547:
	s_or_b64 exec, exec, s[0:1]
	s_orn2_b64 s[24:25], s[24:25], exec
.LBB18_548:
	s_or_b64 exec, exec, s[26:27]
	v_cndmask_b32_e64 v51, v64, v55, s[24:25]
	v_add_u32_e32 v65, 1, v51
	v_mov_b32_e32 v51, 0x7ff
	v_cndmask_b32_e64 v6, v51, v6, s[24:25]
	v_min_u32_e32 v6, v65, v6
	v_lshlrev_b32_e32 v6, 3, v6
	ds_read_b64 v[66:67], v6
	v_cndmask_b32_e64 v6, v65, v64, s[24:25]
	s_movk_i32 s0, 0x800
	v_cmp_gt_u32_e32 vcc, s0, v6
	s_waitcnt lgkmcnt(0)
	v_cndmask_b32_e64 v51, v66, v48, s[24:25]
	v_cndmask_b32_e64 v52, v67, v7, s[24:25]
	;; [unrolled: 1-line block ×4, first 2 shown]
	s_and_saveexec_b64 s[26:27], vcc
	s_cbranch_execz .LBB18_554
; %bb.549:
	v_cndmask_b32_e64 v6, v55, v65, s[24:25]
	v_cmp_lt_u32_e32 vcc, v6, v28
	v_cmp_nlt_f32_e64 s[0:1], v51, v53
	s_and_b64 s[28:29], vcc, s[0:1]
	s_mov_b64 s[22:23], 0
	s_and_saveexec_b64 s[0:1], s[28:29]
	s_cbranch_execz .LBB18_553
; %bb.550:
	v_cmp_nlt_f32_e32 vcc, v53, v51
	s_mov_b64 s[22:23], -1
	s_and_saveexec_b64 s[28:29], vcc
; %bb.551:
	v_cmp_nlt_f32_e32 vcc, v52, v54
	s_orn2_b64 s[22:23], vcc, exec
; %bb.552:
	s_or_b64 exec, exec, s[28:29]
	s_and_b64 s[22:23], s[22:23], exec
.LBB18_553:
	s_or_b64 exec, exec, s[0:1]
	s_orn2_b64 s[22:23], s[22:23], exec
.LBB18_554:
	s_or_b64 exec, exec, s[26:27]
	v_cndmask_b32_e64 v7, v7, v50, s[24:25]
	v_cndmask_b32_e64 v6, v48, v49, s[24:25]
	;; [unrolled: 1-line block ×16, first 2 shown]
.LBB18_555:
	s_or_b64 exec, exec, s[2:3]
	v_lshl_add_u32 v23, v30, 3, v23
	s_barrier
	s_barrier
	ds_write2_b64 v23, v[0:1], v[2:3] offset1:1
	ds_write2_b64 v23, v[14:15], v[16:17] offset0:2 offset1:3
	ds_write2_b64 v23, v[10:11], v[12:13] offset0:4 offset1:5
	;; [unrolled: 1-line block ×3, first 2 shown]
	v_mov_b32_e32 v23, 0
	s_waitcnt lgkmcnt(0)
	s_barrier
	v_lshl_add_u64 v[0:1], v[4:5], 0, v[22:23]
	ds_read_b64 v[2:3], v18
	ds_read_b64 v[4:5], v19 offset:2048
	ds_read_b64 v[6:7], v20 offset:4096
	;; [unrolled: 1-line block ×7, first 2 shown]
	s_movk_i32 s0, 0x1000
	s_waitcnt lgkmcnt(7)
	flat_store_dwordx2 v[0:1], v[2:3]
	s_waitcnt lgkmcnt(0)
	flat_store_dwordx2 v[0:1], v[4:5] offset:2048
	v_add_co_u32_e32 v2, vcc, s0, v0
                                        ; implicit-def: $vgpr30
                                        ; implicit-def: $vgpr22
                                        ; implicit-def: $vgpr4_vgpr5
                                        ; implicit-def: $vgpr32
                                        ; implicit-def: $vgpr28
                                        ; implicit-def: $vgpr29
	s_nop 1
	v_addc_co_u32_e32 v3, vcc, 0, v1, vcc
	flat_store_dwordx2 v[2:3], v[6:7]
	flat_store_dwordx2 v[2:3], v[8:9] offset:2048
	v_add_co_u32_e32 v2, vcc, 0x2000, v0
	s_nop 1
	v_addc_co_u32_e32 v3, vcc, 0, v1, vcc
	v_add_co_u32_e32 v0, vcc, 0x3000, v0
	flat_store_dwordx2 v[2:3], v[10:11]
	flat_store_dwordx2 v[2:3], v[12:13] offset:2048
	v_addc_co_u32_e32 v1, vcc, 0, v1, vcc
	flat_store_dwordx2 v[0:1], v[14:15]
	flat_store_dwordx2 v[0:1], v[16:17] offset:2048
                                        ; implicit-def: $vgpr0
                                        ; implicit-def: $vgpr2_vgpr3
.LBB18_556:
	s_andn2_saveexec_b64 s[36:37], s[4:5]
	s_cbranch_execz .LBB18_957
; %bb.557:
	v_cmp_lt_u32_e32 vcc, v32, v0
	v_mov_b32_e32 v6, 0
	v_mov_b32_e32 v8, 0
	;; [unrolled: 1-line block ×3, first 2 shown]
	s_and_saveexec_b64 s[0:1], vcc
	s_cbranch_execz .LBB18_559
; %bb.558:
	v_mov_b32_e32 v23, 0
	v_lshl_add_u64 v[8:9], v[2:3], 0, v[22:23]
	flat_load_dwordx2 v[8:9], v[8:9]
.LBB18_559:
	s_or_b64 exec, exec, s[0:1]
	v_add_u32_e32 v1, 0x100, v32
	v_cmp_lt_u32_e64 s[0:1], v1, v0
	v_mov_b32_e32 v7, 0
	s_and_saveexec_b64 s[2:3], s[0:1]
	s_cbranch_execz .LBB18_561
; %bb.560:
	v_mov_b32_e32 v23, 0
	v_lshl_add_u64 v[6:7], v[2:3], 0, v[22:23]
	flat_load_dwordx2 v[6:7], v[6:7] offset:2048
.LBB18_561:
	s_or_b64 exec, exec, s[2:3]
	v_add_u32_e32 v24, 0x200, v32
	v_cmp_lt_u32_e64 s[2:3], v24, v0
	v_mov_b32_e32 v10, 0
	v_mov_b32_e32 v12, 0
	;; [unrolled: 1-line block ×3, first 2 shown]
	s_and_saveexec_b64 s[4:5], s[2:3]
	s_cbranch_execz .LBB18_563
; %bb.562:
	v_lshlrev_b32_e32 v12, 3, v24
	v_mov_b32_e32 v13, 0
	v_lshl_add_u64 v[12:13], v[2:3], 0, v[12:13]
	flat_load_dwordx2 v[12:13], v[12:13]
.LBB18_563:
	s_or_b64 exec, exec, s[4:5]
	v_add_u32_e32 v25, 0x300, v32
	v_cmp_lt_u32_e64 s[4:5], v25, v0
	v_mov_b32_e32 v11, 0
	s_and_saveexec_b64 s[6:7], s[4:5]
	s_cbranch_execz .LBB18_565
; %bb.564:
	v_lshlrev_b32_e32 v10, 3, v25
	v_mov_b32_e32 v11, 0
	v_lshl_add_u64 v[10:11], v[2:3], 0, v[10:11]
	flat_load_dwordx2 v[10:11], v[10:11]
.LBB18_565:
	s_or_b64 exec, exec, s[6:7]
	v_or_b32_e32 v26, 0x400, v32
	v_cmp_lt_u32_e64 s[6:7], v26, v0
	v_mov_b32_e32 v14, 0
	v_mov_b32_e32 v16, 0
	;; [unrolled: 1-line block ×3, first 2 shown]
	s_and_saveexec_b64 s[10:11], s[6:7]
	s_cbranch_execz .LBB18_567
; %bb.566:
	v_lshlrev_b32_e32 v16, 3, v26
	v_mov_b32_e32 v17, 0
	v_lshl_add_u64 v[16:17], v[2:3], 0, v[16:17]
	flat_load_dwordx2 v[16:17], v[16:17]
.LBB18_567:
	s_or_b64 exec, exec, s[10:11]
	v_add_u32_e32 v27, 0x500, v32
	v_cmp_lt_u32_e64 s[10:11], v27, v0
	v_mov_b32_e32 v15, 0
	s_and_saveexec_b64 s[14:15], s[10:11]
	s_cbranch_execz .LBB18_569
; %bb.568:
	v_lshlrev_b32_e32 v14, 3, v27
	v_mov_b32_e32 v15, 0
	v_lshl_add_u64 v[14:15], v[2:3], 0, v[14:15]
	flat_load_dwordx2 v[14:15], v[14:15]
.LBB18_569:
	s_or_b64 exec, exec, s[14:15]
	v_add_u32_e32 v37, 0x600, v32
	v_cmp_lt_u32_e64 s[28:29], v37, v0
	v_mov_b32_e32 v18, 0
	v_mov_b32_e32 v20, 0
	;; [unrolled: 1-line block ×3, first 2 shown]
	s_and_saveexec_b64 s[14:15], s[28:29]
	s_cbranch_execz .LBB18_571
; %bb.570:
	v_lshlrev_b32_e32 v20, 3, v37
	v_mov_b32_e32 v21, 0
	v_lshl_add_u64 v[20:21], v[2:3], 0, v[20:21]
	flat_load_dwordx2 v[20:21], v[20:21]
.LBB18_571:
	s_or_b64 exec, exec, s[14:15]
	v_add_u32_e32 v38, 0x700, v32
	v_cmp_lt_u32_e64 s[14:15], v38, v0
	v_mov_b32_e32 v19, 0
	s_and_saveexec_b64 s[16:17], s[14:15]
	s_cbranch_execz .LBB18_573
; %bb.572:
	v_lshlrev_b32_e32 v18, 3, v38
	v_mov_b32_e32 v19, 0
	v_lshl_add_u64 v[2:3], v[2:3], 0, v[18:19]
	flat_load_dwordx2 v[18:19], v[2:3]
.LBB18_573:
	s_or_b64 exec, exec, s[16:17]
	v_lshrrev_b32_e32 v1, 2, v1
	v_and_b32_e32 v1, 0x1f8, v1
	v_add_u32_e32 v23, v1, v22
	v_lshrrev_b32_e32 v1, 2, v24
	v_and_b32_e32 v1, 0x1f8, v1
	v_add_u32_e32 v33, v1, v22
	;; [unrolled: 3-line block ×6, first 2 shown]
	v_lshrrev_b32_e32 v1, 2, v38
	v_and_b32_e32 v2, 0xf8, v30
	v_and_b32_e32 v1, 0x3f8, v1
	v_add_u32_e32 v31, v2, v22
	v_add_u32_e32 v38, v1, v22
	v_add_lshl_u32 v1, v30, v22, 3
	s_waitcnt vmcnt(0) lgkmcnt(0)
	ds_write_b64 v31, v[8:9]
	ds_write_b64 v23, v[6:7] offset:2048
	ds_write_b64 v33, v[12:13] offset:4096
	;; [unrolled: 1-line block ×7, first 2 shown]
	s_waitcnt lgkmcnt(0)
	s_barrier
	ds_read2_b64 v[14:17], v1 offset1:1
	ds_read2_b64 v[18:21], v1 offset0:2 offset1:3
	ds_read2_b64 v[10:13], v1 offset0:4 offset1:5
	;; [unrolled: 1-line block ×3, first 2 shown]
	s_waitcnt lgkmcnt(0)
	s_barrier
	s_load_dwordx2 s[16:17], s[8:9], 0x0
	v_mov_b32_e32 v1, 0
	v_mov_b32_e32 v2, v15
	s_waitcnt lgkmcnt(0)
	s_cmp_lt_u32 s12, s16
	s_cselect_b32 s16, 12, 18
	s_cmp_lt_u32 s13, s17
	s_cselect_b32 s12, 14, 20
	s_add_u32 s12, s8, s12
	s_addc_u32 s13, s9, 0
	s_add_u32 s8, s8, s16
	s_addc_u32 s9, s9, 0
	global_load_ushort v3, v1, s[12:13]
	global_load_ushort v24, v1, s[8:9]
	s_waitcnt vmcnt(1)
	v_mad_u32_u24 v1, v28, v3, v29
	s_waitcnt vmcnt(0)
	v_mul_lo_u32 v1, v1, v24
	v_add_lshl_u32 v39, v1, v32, 3
	v_sub_u32_e64 v48, v0, v39 clamp
	v_cmp_lt_u32_e64 s[8:9], 1, v48
	v_mov_b32_e32 v3, v14
	s_and_saveexec_b64 s[20:21], s[8:9]
; %bb.574:
	v_cmp_lt_f32_e64 s[16:17], v14, v16
	v_cmp_nlt_f32_e64 s[18:19], v17, v15
	v_cmp_nlt_f32_e64 s[12:13], v16, v14
	s_or_b64 s[16:17], s[16:17], s[18:19]
	s_and_b64 s[12:13], s[12:13], s[16:17]
	v_cndmask_b32_e64 v3, v16, v14, s[12:13]
	v_cndmask_b32_e64 v2, v17, v15, s[12:13]
	;; [unrolled: 1-line block ×4, first 2 shown]
; %bb.575:
	s_or_b64 exec, exec, s[20:21]
	v_mov_b32_e32 v24, v20
	v_mov_b32_e32 v25, v21
	v_cmp_lt_u32_e64 s[16:17], 3, v48
	s_and_saveexec_b64 s[22:23], s[16:17]
	s_cbranch_execz .LBB18_579
; %bb.576:
	v_cmp_nlt_f32_e64 s[18:19], v18, v20
	v_cmp_lt_f32_e64 s[20:21], v21, v19
	v_cmp_lt_f32_e64 s[12:13], v20, v18
	s_and_b64 s[18:19], s[18:19], s[20:21]
	s_or_b64 s[18:19], s[12:13], s[18:19]
	s_and_saveexec_b64 s[12:13], s[18:19]
; %bb.577:
	v_mov_b64_e32 v[24:25], v[18:19]
	v_mov_b32_e32 v18, v20
	v_mov_b32_e32 v19, v21
; %bb.578:
	s_or_b64 exec, exec, s[12:13]
.LBB18_579:
	s_or_b64 exec, exec, s[22:23]
	v_mov_b32_e32 v20, v12
	v_mov_b32_e32 v21, v13
	v_cmp_lt_u32_e64 s[18:19], 5, v48
	s_and_saveexec_b64 s[24:25], s[18:19]
	s_cbranch_execz .LBB18_583
; %bb.580:
	v_cmp_nlt_f32_e64 s[20:21], v10, v12
	v_cmp_lt_f32_e64 s[22:23], v13, v11
	v_cmp_lt_f32_e64 s[12:13], v12, v10
	s_and_b64 s[20:21], s[20:21], s[22:23]
	s_or_b64 s[20:21], s[12:13], s[20:21]
	s_and_saveexec_b64 s[12:13], s[20:21]
; %bb.581:
	v_mov_b64_e32 v[20:21], v[10:11]
	v_mov_b32_e32 v10, v12
	v_mov_b32_e32 v11, v13
; %bb.582:
	s_or_b64 exec, exec, s[12:13]
.LBB18_583:
	s_or_b64 exec, exec, s[24:25]
	v_cmp_lt_u32_e64 s[20:21], 7, v48
	v_mov_b32_e32 v12, v9
	v_mov_b32_e32 v1, v8
	s_and_saveexec_b64 s[26:27], s[20:21]
; %bb.584:
	v_cmp_lt_f32_e64 s[22:23], v6, v8
	v_cmp_nlt_f32_e64 s[24:25], v9, v7
	v_cmp_nlt_f32_e64 s[12:13], v8, v6
	s_or_b64 s[22:23], s[22:23], s[24:25]
	s_and_b64 s[12:13], s[12:13], s[22:23]
	v_cndmask_b32_e64 v1, v6, v8, s[12:13]
	v_cndmask_b32_e64 v12, v7, v9, s[12:13]
	;; [unrolled: 1-line block ×4, first 2 shown]
; %bb.585:
	s_or_b64 exec, exec, s[26:27]
	v_cmp_lt_u32_e64 s[22:23], 2, v48
	v_mov_b32_e32 v8, v19
	v_mov_b32_e32 v9, v18
	;; [unrolled: 1-line block ×4, first 2 shown]
	s_and_saveexec_b64 s[12:13], s[22:23]
	s_xor_b64 s[30:31], exec, s[12:13]
; %bb.586:
	v_cmp_lt_f32_e64 s[24:25], v16, v18
	v_cmp_nlt_f32_e64 s[26:27], v19, v17
	v_cmp_nlt_f32_e64 s[12:13], v18, v16
	s_or_b64 s[24:25], s[24:25], s[26:27]
	s_and_b64 s[12:13], s[12:13], s[24:25]
	v_cndmask_b32_e64 v9, v16, v18, s[12:13]
	v_cndmask_b32_e64 v8, v17, v19, s[12:13]
	;; [unrolled: 1-line block ×4, first 2 shown]
; %bb.587:
	s_or_b64 exec, exec, s[30:31]
	v_cmp_lt_u32_e64 s[24:25], 4, v48
	v_mov_b32_e32 v14, v11
	v_mov_b32_e32 v15, v10
	;; [unrolled: 1-line block ×4, first 2 shown]
	s_and_saveexec_b64 s[34:35], s[24:25]
; %bb.588:
	v_cmp_lt_f32_e64 s[26:27], v24, v10
	v_cmp_nlt_f32_e64 s[30:31], v11, v25
	v_cmp_nlt_f32_e64 s[12:13], v10, v24
	s_or_b64 s[26:27], s[26:27], s[30:31]
	s_and_b64 s[12:13], s[12:13], s[26:27]
	v_cndmask_b32_e64 v15, v27, v10, s[12:13]
	v_cndmask_b32_e64 v14, v26, v11, s[12:13]
	;; [unrolled: 1-line block ×4, first 2 shown]
; %bb.589:
	s_or_b64 exec, exec, s[34:35]
	v_cmp_lt_u32_e64 s[26:27], 6, v48
	v_mov_b32_e32 v24, v21
	v_mov_b32_e32 v25, v20
	;; [unrolled: 1-line block ×4, first 2 shown]
	s_and_saveexec_b64 s[38:39], s[26:27]
	s_cbranch_execnz .LBB18_619
; %bb.590:
	s_or_b64 exec, exec, s[38:39]
	s_and_saveexec_b64 s[38:39], s[8:9]
	s_cbranch_execnz .LBB18_620
.LBB18_591:
	s_or_b64 exec, exec, s[38:39]
	s_and_saveexec_b64 s[38:39], s[16:17]
	s_cbranch_execnz .LBB18_621
.LBB18_592:
	s_or_b64 exec, exec, s[38:39]
	s_and_saveexec_b64 s[38:39], s[18:19]
	s_cbranch_execnz .LBB18_622
.LBB18_593:
	s_or_b64 exec, exec, s[38:39]
	s_and_saveexec_b64 s[38:39], s[20:21]
	s_cbranch_execnz .LBB18_623
.LBB18_594:
	s_or_b64 exec, exec, s[38:39]
	s_and_saveexec_b64 s[38:39], s[22:23]
	s_cbranch_execnz .LBB18_624
.LBB18_595:
	s_or_b64 exec, exec, s[38:39]
	s_and_saveexec_b64 s[38:39], s[24:25]
	s_cbranch_execnz .LBB18_625
.LBB18_596:
	s_or_b64 exec, exec, s[38:39]
	s_and_saveexec_b64 s[38:39], s[26:27]
	s_cbranch_execnz .LBB18_626
.LBB18_597:
	s_or_b64 exec, exec, s[38:39]
	s_and_saveexec_b64 s[38:39], s[8:9]
	s_cbranch_execnz .LBB18_627
.LBB18_598:
	s_or_b64 exec, exec, s[38:39]
	s_and_saveexec_b64 s[38:39], s[16:17]
	s_cbranch_execnz .LBB18_628
.LBB18_599:
	s_or_b64 exec, exec, s[38:39]
	s_and_saveexec_b64 s[38:39], s[18:19]
	s_cbranch_execnz .LBB18_629
.LBB18_600:
	s_or_b64 exec, exec, s[38:39]
	s_and_saveexec_b64 s[38:39], s[20:21]
	s_cbranch_execnz .LBB18_630
.LBB18_601:
	s_or_b64 exec, exec, s[38:39]
	s_and_saveexec_b64 s[38:39], s[22:23]
	s_cbranch_execnz .LBB18_631
.LBB18_602:
	s_or_b64 exec, exec, s[38:39]
	s_and_saveexec_b64 s[38:39], s[24:25]
	s_cbranch_execnz .LBB18_632
.LBB18_603:
	s_or_b64 exec, exec, s[38:39]
	s_and_saveexec_b64 s[38:39], s[26:27]
	s_cbranch_execnz .LBB18_633
.LBB18_604:
	s_or_b64 exec, exec, s[38:39]
	s_and_saveexec_b64 s[34:35], s[8:9]
	s_cbranch_execnz .LBB18_634
.LBB18_605:
	s_or_b64 exec, exec, s[34:35]
	s_and_saveexec_b64 s[30:31], s[16:17]
	s_cbranch_execnz .LBB18_635
.LBB18_606:
	s_or_b64 exec, exec, s[30:31]
	s_and_saveexec_b64 s[30:31], s[18:19]
	s_cbranch_execnz .LBB18_636
.LBB18_607:
	s_or_b64 exec, exec, s[30:31]
	s_and_saveexec_b64 s[18:19], s[20:21]
	s_cbranch_execnz .LBB18_637
.LBB18_608:
	s_or_b64 exec, exec, s[18:19]
	s_and_saveexec_b64 s[18:19], s[22:23]
	s_cbranch_execnz .LBB18_638
.LBB18_609:
	s_or_b64 exec, exec, s[18:19]
	s_and_saveexec_b64 s[18:19], s[24:25]
	s_cbranch_execnz .LBB18_639
.LBB18_610:
	s_or_b64 exec, exec, s[18:19]
	s_and_saveexec_b64 s[18:19], s[26:27]
.LBB18_611:
	v_cmp_lt_f32_e64 s[12:13], v25, v17
	v_cmp_nlt_f32_e64 s[16:17], v16, v24
	v_cmp_nlt_f32_e64 s[8:9], v17, v25
	s_or_b64 s[12:13], s[12:13], s[16:17]
	s_and_b64 s[8:9], s[8:9], s[12:13]
	v_cndmask_b32_e64 v7, v17, v25, s[8:9]
	v_cndmask_b32_e64 v6, v16, v24, s[8:9]
	;; [unrolled: 1-line block ×4, first 2 shown]
	v_mov_b64_e32 v[24:25], v[6:7]
.LBB18_612:
	s_or_b64 exec, exec, s[18:19]
	v_mbcnt_lo_u32_b32 v6, -1, 0
	v_mbcnt_hi_u32_b32 v6, -1, v6
	v_and_b32_e32 v7, 0xfffffe00, v39
	v_lshlrev_b32_e32 v50, 3, v6
	v_sub_u32_e64 v48, v0, v7 clamp
	v_lshlrev_b32_e32 v39, 3, v7
	v_lshlrev_b32_e32 v7, 6, v6
	v_or_b32_e32 v6, 8, v50
	v_min_u32_e32 v51, v48, v6
	v_add_u32_e32 v6, 8, v51
	v_add_u32_e32 v49, v39, v7
	v_mov_b32_e32 v18, v3
	v_mov_b32_e32 v19, v2
	;; [unrolled: 1-line block ×4, first 2 shown]
	v_and_b32_e32 v55, 0x3f0, v50
	v_min_u32_e32 v52, v48, v6
	v_and_b32_e32 v6, 8, v50
	ds_write_b128 v49, v[18:21]
	v_mov_b32_e32 v18, v9
	v_mov_b32_e32 v19, v8
	;; [unrolled: 1-line block ×4, first 2 shown]
	v_min_u32_e32 v64, v48, v6
	v_sub_u32_e32 v6, v51, v55
	v_sub_u32_e32 v7, v52, v51
	ds_write_b128 v49, v[18:21] offset:16
	v_mov_b32_e32 v18, v15
	v_mov_b32_e32 v19, v14
	;; [unrolled: 1-line block ×4, first 2 shown]
	v_sub_u32_e64 v54, v64, v7 clamp
	v_min_u32_e32 v6, v64, v6
	ds_write_b128 v49, v[18:21] offset:32
	v_mov_b32_e32 v18, v17
	v_mov_b32_e32 v19, v16
	;; [unrolled: 1-line block ×4, first 2 shown]
	v_lshl_add_u32 v53, v55, 3, v39
	v_cmp_lt_u32_e64 s[8:9], v54, v6
	ds_write_b128 v49, v[18:21] offset:48
	; wave barrier
	s_and_saveexec_b64 s[12:13], s[8:9]
	s_cbranch_execz .LBB18_641
; %bb.613:
	v_lshlrev_b32_e32 v7, 3, v51
	v_lshlrev_b32_e32 v10, 3, v64
	v_add3_u32 v7, v39, v7, v10
	s_mov_b64 s[16:17], 0
                                        ; implicit-def: $sgpr18_sgpr19
	s_branch .LBB18_616
.LBB18_614:                             ;   in Loop: Header=BB18_616 Depth=1
	s_or_b64 exec, exec, s[24:25]
	s_andn2_b64 s[8:9], s[18:19], exec
	s_and_b64 s[18:19], s[22:23], exec
	s_or_b64 s[18:19], s[8:9], s[18:19]
.LBB18_615:                             ;   in Loop: Header=BB18_616 Depth=1
	s_or_b64 exec, exec, s[20:21]
	v_add_u32_e32 v11, 1, v10
	v_cndmask_b32_e64 v6, v6, v10, s[18:19]
	v_cndmask_b32_e64 v54, v11, v54, s[18:19]
	v_cmp_ge_u32_e64 s[8:9], v54, v6
	s_or_b64 s[16:17], s[8:9], s[16:17]
	s_andn2_b64 exec, exec, s[16:17]
	s_cbranch_execz .LBB18_640
.LBB18_616:                             ; =>This Inner Loop Header: Depth=1
	v_add_u32_e32 v10, v6, v54
	v_lshrrev_b32_e32 v10, 1, v10
	v_not_b32_e32 v13, v10
	v_lshl_add_u32 v11, v10, 3, v53
	v_lshl_add_u32 v13, v13, 3, v7
	ds_read_b32 v18, v11
	ds_read_b32 v19, v13
	s_or_b64 s[18:19], s[18:19], exec
	s_waitcnt lgkmcnt(0)
	v_cmp_nlt_f32_e64 s[8:9], v19, v18
	s_and_saveexec_b64 s[20:21], s[8:9]
	s_cbranch_execz .LBB18_615
; %bb.617:                              ;   in Loop: Header=BB18_616 Depth=1
	v_cmp_nlt_f32_e64 s[8:9], v18, v19
	s_mov_b64 s[22:23], 0
	s_and_saveexec_b64 s[24:25], s[8:9]
	s_cbranch_execz .LBB18_614
; %bb.618:                              ;   in Loop: Header=BB18_616 Depth=1
	ds_read_b32 v13, v13 offset:4
	ds_read_b32 v11, v11 offset:4
	s_waitcnt lgkmcnt(0)
	v_cmp_lt_f32_e64 s[8:9], v13, v11
	s_and_b64 s[22:23], s[8:9], exec
	s_branch .LBB18_614
.LBB18_619:
	v_cmp_lt_f32_e64 s[30:31], v20, v6
	v_cmp_nlt_f32_e64 s[34:35], v7, v21
	v_cmp_nlt_f32_e64 s[12:13], v6, v20
	s_or_b64 s[30:31], s[30:31], s[34:35]
	s_and_b64 s[12:13], s[12:13], s[30:31]
	v_cndmask_b32_e64 v7, v17, v25, s[12:13]
	v_cndmask_b32_e64 v6, v16, v24, s[12:13]
	;; [unrolled: 1-line block ×4, first 2 shown]
	v_mov_b64_e32 v[24:25], v[6:7]
	s_or_b64 exec, exec, s[38:39]
	s_and_saveexec_b64 s[38:39], s[8:9]
	s_cbranch_execz .LBB18_591
.LBB18_620:
	v_cmp_lt_f32_e64 s[30:31], v3, v29
	v_cmp_nlt_f32_e64 s[34:35], v28, v2
	v_cmp_nlt_f32_e64 s[12:13], v29, v3
	s_or_b64 s[30:31], s[30:31], s[34:35]
	s_and_b64 s[12:13], s[12:13], s[30:31]
	v_cndmask_b32_e64 v7, v3, v29, s[12:13]
	v_cndmask_b32_e64 v6, v2, v28, s[12:13]
	;; [unrolled: 1-line block ×4, first 2 shown]
	v_mov_b64_e32 v[28:29], v[6:7]
	s_or_b64 exec, exec, s[38:39]
	s_and_saveexec_b64 s[38:39], s[16:17]
	s_cbranch_execz .LBB18_592
.LBB18_621:
	v_cmp_lt_f32_e64 s[30:31], v9, v27
	v_cmp_nlt_f32_e64 s[34:35], v26, v8
	v_cmp_nlt_f32_e64 s[12:13], v27, v9
	s_or_b64 s[30:31], s[30:31], s[34:35]
	s_and_b64 s[12:13], s[12:13], s[30:31]
	v_cndmask_b32_e64 v7, v9, v27, s[12:13]
	v_cndmask_b32_e64 v6, v8, v26, s[12:13]
	;; [unrolled: 1-line block ×4, first 2 shown]
	v_mov_b64_e32 v[26:27], v[6:7]
	s_or_b64 exec, exec, s[38:39]
	s_and_saveexec_b64 s[38:39], s[18:19]
	s_cbranch_execz .LBB18_593
.LBB18_622:
	v_cmp_lt_f32_e64 s[30:31], v15, v25
	v_cmp_nlt_f32_e64 s[34:35], v24, v14
	v_cmp_nlt_f32_e64 s[12:13], v25, v15
	s_or_b64 s[30:31], s[30:31], s[34:35]
	s_and_b64 s[12:13], s[12:13], s[30:31]
	v_cndmask_b32_e64 v7, v25, v15, s[12:13]
	v_cndmask_b32_e64 v6, v24, v14, s[12:13]
	;; [unrolled: 1-line block ×4, first 2 shown]
	v_mov_b64_e32 v[14:15], v[6:7]
	s_or_b64 exec, exec, s[38:39]
	s_and_saveexec_b64 s[38:39], s[20:21]
	s_cbranch_execz .LBB18_594
.LBB18_623:
	v_cmp_lt_f32_e64 s[30:31], v17, v1
	v_cmp_nlt_f32_e64 s[34:35], v12, v16
	v_cmp_nlt_f32_e64 s[12:13], v1, v17
	s_or_b64 s[30:31], s[30:31], s[34:35]
	s_and_b64 s[12:13], s[12:13], s[30:31]
	v_cndmask_b32_e64 v7, v1, v17, s[12:13]
	v_cndmask_b32_e64 v6, v12, v16, s[12:13]
	;; [unrolled: 1-line block ×4, first 2 shown]
	v_mov_b64_e32 v[16:17], v[6:7]
	s_or_b64 exec, exec, s[38:39]
	s_and_saveexec_b64 s[38:39], s[22:23]
	s_cbranch_execz .LBB18_595
.LBB18_624:
	v_cmp_lt_f32_e64 s[30:31], v29, v9
	v_cmp_nlt_f32_e64 s[34:35], v8, v28
	v_cmp_nlt_f32_e64 s[12:13], v9, v29
	s_or_b64 s[30:31], s[30:31], s[34:35]
	s_and_b64 s[12:13], s[12:13], s[30:31]
	v_cndmask_b32_e64 v7, v29, v9, s[12:13]
	v_cndmask_b32_e64 v6, v28, v8, s[12:13]
	;; [unrolled: 1-line block ×4, first 2 shown]
	v_mov_b64_e32 v[8:9], v[6:7]
	s_or_b64 exec, exec, s[38:39]
	s_and_saveexec_b64 s[38:39], s[24:25]
	s_cbranch_execz .LBB18_596
.LBB18_625:
	v_cmp_lt_f32_e64 s[30:31], v27, v15
	v_cmp_nlt_f32_e64 s[34:35], v14, v26
	v_cmp_nlt_f32_e64 s[12:13], v15, v27
	s_or_b64 s[30:31], s[30:31], s[34:35]
	s_and_b64 s[12:13], s[12:13], s[30:31]
	v_cndmask_b32_e64 v7, v15, v27, s[12:13]
	v_cndmask_b32_e64 v6, v14, v26, s[12:13]
	;; [unrolled: 1-line block ×4, first 2 shown]
	v_mov_b64_e32 v[26:27], v[6:7]
	s_or_b64 exec, exec, s[38:39]
	s_and_saveexec_b64 s[38:39], s[26:27]
	s_cbranch_execz .LBB18_597
.LBB18_626:
	v_cmp_lt_f32_e64 s[30:31], v25, v17
	v_cmp_nlt_f32_e64 s[34:35], v16, v24
	v_cmp_nlt_f32_e64 s[12:13], v17, v25
	s_or_b64 s[30:31], s[30:31], s[34:35]
	s_and_b64 s[12:13], s[12:13], s[30:31]
	v_cndmask_b32_e64 v7, v17, v25, s[12:13]
	v_cndmask_b32_e64 v6, v16, v24, s[12:13]
	;; [unrolled: 1-line block ×4, first 2 shown]
	v_mov_b64_e32 v[24:25], v[6:7]
	s_or_b64 exec, exec, s[38:39]
	s_and_saveexec_b64 s[38:39], s[8:9]
	s_cbranch_execz .LBB18_598
.LBB18_627:
	v_cmp_lt_f32_e64 s[30:31], v3, v29
	v_cmp_nlt_f32_e64 s[34:35], v28, v2
	v_cmp_nlt_f32_e64 s[12:13], v29, v3
	s_or_b64 s[30:31], s[30:31], s[34:35]
	s_and_b64 s[12:13], s[12:13], s[30:31]
	v_cndmask_b32_e64 v7, v29, v3, s[12:13]
	v_cndmask_b32_e64 v6, v28, v2, s[12:13]
	;; [unrolled: 1-line block ×4, first 2 shown]
	v_mov_b64_e32 v[2:3], v[6:7]
	s_or_b64 exec, exec, s[38:39]
	s_and_saveexec_b64 s[38:39], s[16:17]
	s_cbranch_execz .LBB18_599
.LBB18_628:
	v_cmp_lt_f32_e64 s[30:31], v9, v27
	v_cmp_nlt_f32_e64 s[34:35], v26, v8
	v_cmp_nlt_f32_e64 s[12:13], v27, v9
	s_or_b64 s[30:31], s[30:31], s[34:35]
	s_and_b64 s[12:13], s[12:13], s[30:31]
	v_cndmask_b32_e64 v7, v27, v9, s[12:13]
	v_cndmask_b32_e64 v6, v26, v8, s[12:13]
	;; [unrolled: 1-line block ×4, first 2 shown]
	v_mov_b64_e32 v[8:9], v[6:7]
	s_or_b64 exec, exec, s[38:39]
	s_and_saveexec_b64 s[38:39], s[18:19]
	s_cbranch_execz .LBB18_600
.LBB18_629:
	v_cmp_lt_f32_e64 s[30:31], v15, v25
	v_cmp_nlt_f32_e64 s[34:35], v24, v14
	v_cmp_nlt_f32_e64 s[12:13], v25, v15
	s_or_b64 s[30:31], s[30:31], s[34:35]
	s_and_b64 s[12:13], s[12:13], s[30:31]
	v_cndmask_b32_e64 v7, v25, v15, s[12:13]
	v_cndmask_b32_e64 v6, v24, v14, s[12:13]
	;; [unrolled: 1-line block ×4, first 2 shown]
	v_mov_b64_e32 v[14:15], v[6:7]
	s_or_b64 exec, exec, s[38:39]
	s_and_saveexec_b64 s[38:39], s[20:21]
	s_cbranch_execz .LBB18_601
.LBB18_630:
	v_cmp_lt_f32_e64 s[30:31], v17, v1
	v_cmp_nlt_f32_e64 s[34:35], v12, v16
	v_cmp_nlt_f32_e64 s[12:13], v1, v17
	s_or_b64 s[30:31], s[30:31], s[34:35]
	s_and_b64 s[12:13], s[12:13], s[30:31]
	v_cndmask_b32_e64 v7, v1, v17, s[12:13]
	v_cndmask_b32_e64 v6, v12, v16, s[12:13]
	;; [unrolled: 1-line block ×4, first 2 shown]
	v_mov_b64_e32 v[16:17], v[6:7]
	s_or_b64 exec, exec, s[38:39]
	s_and_saveexec_b64 s[38:39], s[22:23]
	s_cbranch_execz .LBB18_602
.LBB18_631:
	v_cmp_lt_f32_e64 s[30:31], v29, v9
	v_cmp_nlt_f32_e64 s[34:35], v8, v28
	v_cmp_nlt_f32_e64 s[12:13], v9, v29
	s_or_b64 s[30:31], s[30:31], s[34:35]
	s_and_b64 s[12:13], s[12:13], s[30:31]
	v_cndmask_b32_e64 v7, v9, v29, s[12:13]
	v_cndmask_b32_e64 v6, v8, v28, s[12:13]
	;; [unrolled: 1-line block ×4, first 2 shown]
	v_mov_b64_e32 v[28:29], v[6:7]
	s_or_b64 exec, exec, s[38:39]
	s_and_saveexec_b64 s[38:39], s[24:25]
	s_cbranch_execz .LBB18_603
.LBB18_632:
	v_cmp_lt_f32_e64 s[30:31], v27, v15
	v_cmp_nlt_f32_e64 s[34:35], v14, v26
	v_cmp_nlt_f32_e64 s[12:13], v15, v27
	s_or_b64 s[30:31], s[30:31], s[34:35]
	s_and_b64 s[12:13], s[12:13], s[30:31]
	v_cndmask_b32_e64 v7, v15, v27, s[12:13]
	v_cndmask_b32_e64 v6, v14, v26, s[12:13]
	;; [unrolled: 1-line block ×4, first 2 shown]
	v_mov_b64_e32 v[26:27], v[6:7]
	s_or_b64 exec, exec, s[38:39]
	s_and_saveexec_b64 s[38:39], s[26:27]
	s_cbranch_execz .LBB18_604
.LBB18_633:
	v_cmp_lt_f32_e64 s[30:31], v25, v17
	v_cmp_nlt_f32_e64 s[34:35], v16, v24
	v_cmp_nlt_f32_e64 s[12:13], v17, v25
	s_or_b64 s[30:31], s[30:31], s[34:35]
	s_and_b64 s[12:13], s[12:13], s[30:31]
	v_cndmask_b32_e64 v7, v17, v25, s[12:13]
	v_cndmask_b32_e64 v6, v16, v24, s[12:13]
	;; [unrolled: 1-line block ×4, first 2 shown]
	v_mov_b64_e32 v[24:25], v[6:7]
	s_or_b64 exec, exec, s[38:39]
	s_and_saveexec_b64 s[34:35], s[8:9]
	s_cbranch_execz .LBB18_605
.LBB18_634:
	v_cmp_lt_f32_e64 s[12:13], v3, v29
	v_cmp_nlt_f32_e64 s[30:31], v28, v2
	v_cmp_nlt_f32_e64 s[8:9], v29, v3
	s_or_b64 s[12:13], s[12:13], s[30:31]
	s_and_b64 s[8:9], s[8:9], s[12:13]
	v_cndmask_b32_e64 v7, v29, v3, s[8:9]
	v_cndmask_b32_e64 v6, v28, v2, s[8:9]
	;; [unrolled: 1-line block ×4, first 2 shown]
	v_mov_b64_e32 v[2:3], v[6:7]
	s_or_b64 exec, exec, s[34:35]
	s_and_saveexec_b64 s[30:31], s[16:17]
	s_cbranch_execz .LBB18_606
.LBB18_635:
	v_cmp_lt_f32_e64 s[12:13], v9, v27
	v_cmp_nlt_f32_e64 s[16:17], v26, v8
	v_cmp_nlt_f32_e64 s[8:9], v27, v9
	s_or_b64 s[12:13], s[12:13], s[16:17]
	s_and_b64 s[8:9], s[8:9], s[12:13]
	v_cndmask_b32_e64 v7, v27, v9, s[8:9]
	v_cndmask_b32_e64 v6, v26, v8, s[8:9]
	;; [unrolled: 1-line block ×4, first 2 shown]
	v_mov_b64_e32 v[8:9], v[6:7]
	s_or_b64 exec, exec, s[30:31]
	s_and_saveexec_b64 s[30:31], s[18:19]
	s_cbranch_execz .LBB18_607
.LBB18_636:
	v_cmp_lt_f32_e64 s[12:13], v15, v25
	v_cmp_nlt_f32_e64 s[16:17], v24, v14
	v_cmp_nlt_f32_e64 s[8:9], v25, v15
	s_or_b64 s[12:13], s[12:13], s[16:17]
	s_and_b64 s[8:9], s[8:9], s[12:13]
	v_cndmask_b32_e64 v7, v25, v15, s[8:9]
	v_cndmask_b32_e64 v6, v24, v14, s[8:9]
	;; [unrolled: 1-line block ×4, first 2 shown]
	v_mov_b64_e32 v[14:15], v[6:7]
	s_or_b64 exec, exec, s[30:31]
	s_and_saveexec_b64 s[18:19], s[20:21]
	s_cbranch_execz .LBB18_608
.LBB18_637:
	v_cmp_lt_f32_e64 s[12:13], v17, v1
	v_cmp_nlt_f32_e64 s[16:17], v12, v16
	v_cmp_nlt_f32_e64 s[8:9], v1, v17
	s_or_b64 s[12:13], s[12:13], s[16:17]
	s_and_b64 s[8:9], s[8:9], s[12:13]
	v_cndmask_b32_e64 v7, v1, v17, s[8:9]
	v_cndmask_b32_e64 v6, v12, v16, s[8:9]
	;; [unrolled: 1-line block ×4, first 2 shown]
	v_mov_b64_e32 v[16:17], v[6:7]
	s_or_b64 exec, exec, s[18:19]
	s_and_saveexec_b64 s[18:19], s[22:23]
	s_cbranch_execz .LBB18_609
.LBB18_638:
	v_cmp_lt_f32_e64 s[12:13], v29, v9
	v_cmp_nlt_f32_e64 s[16:17], v8, v28
	v_cmp_nlt_f32_e64 s[8:9], v9, v29
	s_or_b64 s[12:13], s[12:13], s[16:17]
	s_and_b64 s[8:9], s[8:9], s[12:13]
	v_cndmask_b32_e64 v7, v9, v29, s[8:9]
	v_cndmask_b32_e64 v6, v8, v28, s[8:9]
	;; [unrolled: 1-line block ×4, first 2 shown]
	v_mov_b64_e32 v[28:29], v[6:7]
	s_or_b64 exec, exec, s[18:19]
	s_and_saveexec_b64 s[18:19], s[24:25]
	s_cbranch_execz .LBB18_610
.LBB18_639:
	v_cmp_lt_f32_e64 s[12:13], v27, v15
	v_cmp_nlt_f32_e64 s[16:17], v14, v26
	v_cmp_nlt_f32_e64 s[8:9], v15, v27
	s_or_b64 s[12:13], s[12:13], s[16:17]
	s_and_b64 s[8:9], s[8:9], s[12:13]
	v_cndmask_b32_e64 v7, v15, v27, s[8:9]
	v_cndmask_b32_e64 v6, v14, v26, s[8:9]
	;; [unrolled: 1-line block ×4, first 2 shown]
	v_mov_b64_e32 v[26:27], v[6:7]
	s_or_b64 exec, exec, s[18:19]
	s_and_saveexec_b64 s[18:19], s[26:27]
	s_cbranch_execnz .LBB18_611
	s_branch .LBB18_612
.LBB18_640:
	s_or_b64 exec, exec, s[16:17]
.LBB18_641:
	s_or_b64 exec, exec, s[12:13]
	v_mov_b32_e32 v10, v15
	v_mov_b32_e32 v15, v8
	;; [unrolled: 1-line block ×3, first 2 shown]
	v_add_u32_e32 v1, v51, v64
	v_add_u32_e32 v55, v54, v55
	v_sub_u32_e32 v64, v1, v54
	v_cmp_le_u32_e64 s[8:9], v55, v51
	v_cmp_le_u32_e64 s[12:13], v64, v52
	v_mov_b32_e32 v11, v14
	v_mov_b32_e32 v14, v9
	;; [unrolled: 1-line block ×13, first 2 shown]
	s_or_b64 s[8:9], s[8:9], s[12:13]
	s_and_saveexec_b64 s[16:17], s[8:9]
	s_cbranch_execz .LBB18_695
; %bb.642:
	v_cmp_ge_u32_e64 s[8:9], v55, v51
	v_cmp_lt_u32_e64 s[12:13], v55, v51
	v_mov_b32_e32 v8, 0
	v_mov_b32_e32 v12, 0
	;; [unrolled: 1-line block ×3, first 2 shown]
	s_and_saveexec_b64 s[18:19], s[12:13]
	s_cbranch_execz .LBB18_644
; %bb.643:
	v_lshl_add_u32 v1, v54, 3, v53
	ds_read_b64 v[12:13], v1
.LBB18_644:
	s_or_b64 exec, exec, s[18:19]
	v_cmp_ge_u32_e64 s[18:19], v64, v52
	v_cmp_lt_u32_e64 s[12:13], v64, v52
	v_mov_b32_e32 v9, 0
	s_and_saveexec_b64 s[20:21], s[12:13]
	s_cbranch_execz .LBB18_646
; %bb.645:
	v_lshl_add_u32 v1, v64, 3, v39
	ds_read_b64 v[8:9], v1
.LBB18_646:
	s_or_b64 exec, exec, s[20:21]
	s_or_b64 s[8:9], s[8:9], s[18:19]
	s_mov_b64 s[20:21], -1
	s_xor_b64 s[8:9], s[8:9], -1
	s_and_saveexec_b64 s[12:13], s[8:9]
	s_cbranch_execz .LBB18_652
; %bb.647:
	s_waitcnt lgkmcnt(0)
	v_cmp_nlt_f32_e64 s[8:9], v8, v12
	s_mov_b64 s[24:25], 0
	s_and_saveexec_b64 s[22:23], s[8:9]
	s_cbranch_execz .LBB18_651
; %bb.648:
	v_cmp_nlt_f32_e64 s[8:9], v12, v8
	s_mov_b64 s[24:25], -1
	s_and_saveexec_b64 s[26:27], s[8:9]
; %bb.649:
	v_cmp_nlt_f32_e64 s[8:9], v9, v13
	s_orn2_b64 s[24:25], s[8:9], exec
; %bb.650:
	s_or_b64 exec, exec, s[26:27]
	s_and_b64 s[24:25], s[24:25], exec
.LBB18_651:
	s_or_b64 exec, exec, s[22:23]
	s_andn2_b64 s[8:9], s[18:19], exec
	s_and_b64 s[18:19], s[24:25], exec
	s_or_b64 s[18:19], s[8:9], s[18:19]
.LBB18_652:
	s_or_b64 exec, exec, s[12:13]
	v_cndmask_b32_e64 v1, v64, v55, s[18:19]
	v_cndmask_b32_e64 v2, v52, v51, s[18:19]
	v_add_u32_e32 v10, 1, v1
	v_add_u32_e32 v1, -1, v2
	v_min_u32_e32 v1, v10, v1
	v_lshl_add_u32 v1, v1, 3, v39
	ds_read_b64 v[6:7], v1
	s_waitcnt lgkmcnt(0)
	v_cndmask_b32_e64 v1, v6, v8, s[18:19]
	v_cndmask_b32_e64 v3, v12, v6, s[18:19]
	v_cndmask_b32_e64 v6, v10, v64, s[18:19]
	v_cndmask_b32_e64 v2, v7, v9, s[18:19]
	v_cndmask_b32_e64 v16, v13, v7, s[18:19]
	v_cndmask_b32_e64 v7, v55, v10, s[18:19]
	v_cmp_lt_u32_e64 s[8:9], v6, v52
	s_and_saveexec_b64 s[22:23], s[8:9]
	s_cbranch_execz .LBB18_658
; %bb.653:
	v_cmp_lt_u32_e64 s[8:9], v7, v51
	v_cmp_nlt_f32_e64 s[12:13], v1, v3
	s_and_b64 s[20:21], s[8:9], s[12:13]
	s_mov_b64 s[8:9], 0
	s_and_saveexec_b64 s[12:13], s[20:21]
	s_cbranch_execz .LBB18_657
; %bb.654:
	v_cmp_nlt_f32_e64 s[8:9], v3, v1
	s_mov_b64 s[20:21], -1
	s_and_saveexec_b64 s[24:25], s[8:9]
; %bb.655:
	v_cmp_nlt_f32_e64 s[8:9], v2, v16
	s_orn2_b64 s[20:21], s[8:9], exec
; %bb.656:
	s_or_b64 exec, exec, s[24:25]
	s_and_b64 s[8:9], s[20:21], exec
.LBB18_657:
	s_or_b64 exec, exec, s[12:13]
	s_orn2_b64 s[20:21], s[8:9], exec
.LBB18_658:
	s_or_b64 exec, exec, s[22:23]
	v_cndmask_b32_e64 v10, v6, v7, s[20:21]
	v_cndmask_b32_e64 v11, v52, v51, s[20:21]
	v_add_u32_e32 v19, 1, v10
	v_add_u32_e32 v10, -1, v11
	v_min_u32_e32 v10, v19, v10
	v_lshl_add_u32 v10, v10, 3, v39
	ds_read_b64 v[10:11], v10
	v_cndmask_b32_e64 v6, v19, v6, s[20:21]
	v_cndmask_b32_e64 v7, v7, v19, s[20:21]
	v_cmp_lt_u32_e64 s[8:9], v6, v52
	s_mov_b64 s[24:25], -1
	s_waitcnt lgkmcnt(0)
	v_cndmask_b32_e64 v14, v10, v1, s[20:21]
	v_cndmask_b32_e64 v15, v11, v2, s[20:21]
	;; [unrolled: 1-line block ×4, first 2 shown]
	s_mov_b64 s[22:23], -1
	s_and_saveexec_b64 s[26:27], s[8:9]
	s_cbranch_execz .LBB18_664
; %bb.659:
	v_cmp_lt_u32_e64 s[8:9], v7, v51
	v_cmp_nlt_f32_e64 s[12:13], v14, v17
	s_and_b64 s[22:23], s[8:9], s[12:13]
	s_mov_b64 s[8:9], 0
	s_and_saveexec_b64 s[12:13], s[22:23]
	s_cbranch_execz .LBB18_663
; %bb.660:
	v_cmp_nlt_f32_e64 s[8:9], v17, v14
	s_mov_b64 s[22:23], -1
	s_and_saveexec_b64 s[30:31], s[8:9]
; %bb.661:
	v_cmp_nlt_f32_e64 s[8:9], v15, v18
	s_orn2_b64 s[22:23], s[8:9], exec
; %bb.662:
	s_or_b64 exec, exec, s[30:31]
	s_and_b64 s[8:9], s[22:23], exec
.LBB18_663:
	s_or_b64 exec, exec, s[12:13]
	s_orn2_b64 s[22:23], s[8:9], exec
.LBB18_664:
	s_or_b64 exec, exec, s[26:27]
	v_cndmask_b32_e64 v10, v6, v7, s[22:23]
	v_cndmask_b32_e64 v11, v52, v51, s[22:23]
	v_add_u32_e32 v24, 1, v10
	v_add_u32_e32 v10, -1, v11
	v_min_u32_e32 v10, v24, v10
	v_lshl_add_u32 v10, v10, 3, v39
	ds_read_b64 v[10:11], v10
	v_cndmask_b32_e64 v6, v24, v6, s[22:23]
	v_cndmask_b32_e64 v7, v7, v24, s[22:23]
	v_cmp_lt_u32_e64 s[8:9], v6, v52
	s_waitcnt lgkmcnt(0)
	v_cndmask_b32_e64 v19, v10, v14, s[22:23]
	v_cndmask_b32_e64 v20, v11, v15, s[22:23]
	;; [unrolled: 1-line block ×4, first 2 shown]
	s_and_saveexec_b64 s[26:27], s[8:9]
	s_cbranch_execz .LBB18_670
; %bb.665:
	v_cmp_lt_u32_e64 s[8:9], v7, v51
	v_cmp_nlt_f32_e64 s[12:13], v19, v21
	s_and_b64 s[24:25], s[8:9], s[12:13]
	s_mov_b64 s[8:9], 0
	s_and_saveexec_b64 s[12:13], s[24:25]
	s_cbranch_execz .LBB18_669
; %bb.666:
	v_cmp_nlt_f32_e64 s[8:9], v21, v19
	s_mov_b64 s[24:25], -1
	s_and_saveexec_b64 s[30:31], s[8:9]
; %bb.667:
	v_cmp_nlt_f32_e64 s[8:9], v20, v26
	s_orn2_b64 s[24:25], s[8:9], exec
; %bb.668:
	s_or_b64 exec, exec, s[30:31]
	s_and_b64 s[8:9], s[24:25], exec
.LBB18_669:
	s_or_b64 exec, exec, s[12:13]
	s_orn2_b64 s[24:25], s[8:9], exec
.LBB18_670:
	s_or_b64 exec, exec, s[26:27]
	v_cndmask_b32_e64 v10, v6, v7, s[24:25]
	v_cndmask_b32_e64 v11, v52, v51, s[24:25]
	v_add_u32_e32 v29, 1, v10
	v_add_u32_e32 v10, -1, v11
	v_min_u32_e32 v10, v29, v10
	v_lshl_add_u32 v10, v10, 3, v39
	ds_read_b64 v[24:25], v10
	v_cndmask_b32_e64 v6, v29, v6, s[24:25]
	v_cndmask_b32_e64 v7, v7, v29, s[24:25]
	v_cmp_lt_u32_e64 s[8:9], v6, v52
	s_mov_b64 s[30:31], -1
	s_waitcnt lgkmcnt(0)
	v_cndmask_b32_e64 v10, v24, v19, s[24:25]
	v_cndmask_b32_e64 v11, v25, v20, s[24:25]
	;; [unrolled: 1-line block ×4, first 2 shown]
	s_mov_b64 s[26:27], -1
	s_and_saveexec_b64 s[34:35], s[8:9]
	s_cbranch_execz .LBB18_676
; %bb.671:
	v_cmp_lt_u32_e64 s[8:9], v7, v51
	v_cmp_nlt_f32_e64 s[12:13], v10, v27
	s_and_b64 s[26:27], s[8:9], s[12:13]
	s_mov_b64 s[8:9], 0
	s_and_saveexec_b64 s[12:13], s[26:27]
	s_cbranch_execz .LBB18_675
; %bb.672:
	v_cmp_nlt_f32_e64 s[8:9], v27, v10
	s_mov_b64 s[26:27], -1
	s_and_saveexec_b64 s[38:39], s[8:9]
; %bb.673:
	v_cmp_nlt_f32_e64 s[8:9], v11, v28
	s_orn2_b64 s[26:27], s[8:9], exec
; %bb.674:
	s_or_b64 exec, exec, s[38:39]
	s_and_b64 s[8:9], s[26:27], exec
.LBB18_675:
	s_or_b64 exec, exec, s[12:13]
	s_orn2_b64 s[26:27], s[8:9], exec
.LBB18_676:
	s_or_b64 exec, exec, s[34:35]
	v_cndmask_b32_e64 v24, v6, v7, s[26:27]
	v_cndmask_b32_e64 v25, v52, v51, s[26:27]
	v_add_u32_e32 v65, 1, v24
	v_add_u32_e32 v24, -1, v25
	v_min_u32_e32 v24, v65, v24
	v_lshl_add_u32 v24, v24, 3, v39
	ds_read_b64 v[54:55], v24
	v_cndmask_b32_e64 v64, v65, v6, s[26:27]
	v_cndmask_b32_e64 v65, v7, v65, s[26:27]
	v_cmp_lt_u32_e64 s[8:9], v64, v52
	s_waitcnt lgkmcnt(0)
	v_cndmask_b32_e64 v24, v54, v10, s[26:27]
	v_cndmask_b32_e64 v29, v55, v11, s[26:27]
	v_cndmask_b32_e64 v25, v27, v54, s[26:27]
	v_cndmask_b32_e64 v53, v28, v55, s[26:27]
	s_and_saveexec_b64 s[34:35], s[8:9]
	s_cbranch_execz .LBB18_682
; %bb.677:
	v_cmp_lt_u32_e64 s[8:9], v65, v51
	v_cmp_nlt_f32_e64 s[12:13], v24, v25
	s_and_b64 s[30:31], s[8:9], s[12:13]
	s_mov_b64 s[8:9], 0
	s_and_saveexec_b64 s[12:13], s[30:31]
	s_cbranch_execz .LBB18_681
; %bb.678:
	v_cmp_nlt_f32_e64 s[8:9], v25, v24
	s_mov_b64 s[30:31], -1
	s_and_saveexec_b64 s[38:39], s[8:9]
; %bb.679:
	v_cmp_nlt_f32_e64 s[8:9], v29, v53
	s_orn2_b64 s[30:31], s[8:9], exec
; %bb.680:
	s_or_b64 exec, exec, s[38:39]
	s_and_b64 s[8:9], s[30:31], exec
.LBB18_681:
	s_or_b64 exec, exec, s[12:13]
	s_orn2_b64 s[30:31], s[8:9], exec
.LBB18_682:
	s_or_b64 exec, exec, s[34:35]
	v_cndmask_b32_e64 v6, v64, v65, s[30:31]
	v_cndmask_b32_e64 v7, v52, v51, s[30:31]
	v_add_u32_e32 v66, 1, v6
	v_add_u32_e32 v6, -1, v7
	v_min_u32_e32 v6, v66, v6
	v_lshl_add_u32 v6, v6, 3, v39
	ds_read_b64 v[54:55], v6
	v_cndmask_b32_e64 v69, v66, v64, s[30:31]
	v_cndmask_b32_e64 v68, v65, v66, s[30:31]
	v_cmp_lt_u32_e64 s[8:9], v69, v52
	s_mov_b64 s[34:35], -1
	s_waitcnt lgkmcnt(0)
	v_cndmask_b32_e64 v6, v54, v24, s[30:31]
	v_cndmask_b32_e64 v7, v55, v29, s[30:31]
	;; [unrolled: 1-line block ×4, first 2 shown]
	s_mov_b64 s[38:39], -1
	s_and_saveexec_b64 s[40:41], s[8:9]
	s_cbranch_execz .LBB18_688
; %bb.683:
	v_cmp_lt_u32_e64 s[8:9], v68, v51
	v_cmp_nlt_f32_e64 s[12:13], v6, v54
	s_and_b64 s[38:39], s[8:9], s[12:13]
	s_mov_b64 s[8:9], 0
	s_and_saveexec_b64 s[12:13], s[38:39]
	s_cbranch_execz .LBB18_687
; %bb.684:
	v_cmp_nlt_f32_e64 s[8:9], v54, v6
	s_mov_b64 s[38:39], -1
	s_and_saveexec_b64 s[42:43], s[8:9]
; %bb.685:
	v_cmp_nlt_f32_e64 s[8:9], v7, v55
	s_orn2_b64 s[38:39], s[8:9], exec
; %bb.686:
	s_or_b64 exec, exec, s[42:43]
	s_and_b64 s[8:9], s[38:39], exec
.LBB18_687:
	s_or_b64 exec, exec, s[12:13]
	s_orn2_b64 s[38:39], s[8:9], exec
.LBB18_688:
	s_or_b64 exec, exec, s[40:41]
	v_cndmask_b32_e64 v64, v69, v68, s[38:39]
	v_cndmask_b32_e64 v65, v52, v51, s[38:39]
	v_add_u32_e32 v70, 1, v64
	v_add_u32_e32 v64, -1, v65
	v_min_u32_e32 v64, v70, v64
	v_lshl_add_u32 v64, v64, 3, v39
	ds_read_b64 v[66:67], v64
	v_cndmask_b32_e64 v69, v70, v69, s[38:39]
	v_cmp_lt_u32_e64 s[8:9], v69, v52
	s_waitcnt lgkmcnt(0)
	v_cndmask_b32_e64 v64, v66, v6, s[38:39]
	v_cndmask_b32_e64 v65, v67, v7, s[38:39]
	;; [unrolled: 1-line block ×4, first 2 shown]
	s_and_saveexec_b64 s[40:41], s[8:9]
	s_cbranch_execz .LBB18_694
; %bb.689:
	v_cndmask_b32_e64 v52, v68, v70, s[38:39]
	v_cmp_lt_u32_e64 s[8:9], v52, v51
	v_cmp_nlt_f32_e64 s[12:13], v64, v66
	s_and_b64 s[34:35], s[8:9], s[12:13]
	s_mov_b64 s[8:9], 0
	s_and_saveexec_b64 s[12:13], s[34:35]
	s_cbranch_execz .LBB18_693
; %bb.690:
	v_cmp_nlt_f32_e64 s[8:9], v66, v64
	s_mov_b64 s[34:35], -1
	s_and_saveexec_b64 s[42:43], s[8:9]
; %bb.691:
	v_cmp_nlt_f32_e64 s[8:9], v65, v67
	s_orn2_b64 s[34:35], s[8:9], exec
; %bb.692:
	s_or_b64 exec, exec, s[42:43]
	s_and_b64 s[8:9], s[34:35], exec
.LBB18_693:
	s_or_b64 exec, exec, s[12:13]
	s_orn2_b64 s[34:35], s[8:9], exec
.LBB18_694:
	s_or_b64 exec, exec, s[40:41]
	v_cndmask_b32_e64 v25, v24, v25, s[30:31]
	v_cndmask_b32_e64 v24, v29, v53, s[30:31]
	;; [unrolled: 1-line block ×16, first 2 shown]
	v_mov_b32_e32 v19, v2
	v_mov_b32_e32 v18, v3
	;; [unrolled: 1-line block ×8, first 2 shown]
.LBB18_695:
	s_or_b64 exec, exec, s[16:17]
	v_and_b32_e32 v54, 0x3e0, v50
	v_or_b32_e32 v1, 16, v54
	v_min_u32_e32 v1, v48, v1
	v_add_u32_e32 v51, 16, v1
	v_min_u32_e32 v51, v48, v51
	v_and_b32_e32 v52, 24, v50
	v_min_u32_e32 v55, v48, v52
	v_sub_u32_e32 v64, v1, v54
	v_sub_u32_e32 v53, v51, v1
	v_sub_u32_e64 v53, v55, v53 clamp
	v_min_u32_e32 v64, v55, v64
	v_lshl_add_u32 v52, v54, 3, v39
	v_cmp_lt_u32_e64 s[8:9], v53, v64
	; wave barrier
	ds_write_b128 v49, v[18:21]
	ds_write_b128 v49, v[14:17] offset:16
	ds_write_b128 v49, v[10:13] offset:32
	;; [unrolled: 1-line block ×3, first 2 shown]
	; wave barrier
	s_and_saveexec_b64 s[12:13], s[8:9]
	s_cbranch_execz .LBB18_703
; %bb.696:
	v_lshlrev_b32_e32 v65, 3, v1
	v_lshlrev_b32_e32 v66, 3, v55
	v_add3_u32 v65, v39, v65, v66
	s_mov_b64 s[16:17], 0
                                        ; implicit-def: $sgpr18_sgpr19
	s_branch .LBB18_699
.LBB18_697:                             ;   in Loop: Header=BB18_699 Depth=1
	s_or_b64 exec, exec, s[24:25]
	s_andn2_b64 s[8:9], s[18:19], exec
	s_and_b64 s[18:19], s[22:23], exec
	s_or_b64 s[18:19], s[8:9], s[18:19]
.LBB18_698:                             ;   in Loop: Header=BB18_699 Depth=1
	s_or_b64 exec, exec, s[20:21]
	v_add_u32_e32 v67, 1, v66
	v_cndmask_b32_e64 v64, v64, v66, s[18:19]
	v_cndmask_b32_e64 v53, v67, v53, s[18:19]
	v_cmp_ge_u32_e64 s[8:9], v53, v64
	s_or_b64 s[16:17], s[8:9], s[16:17]
	s_andn2_b64 exec, exec, s[16:17]
	s_cbranch_execz .LBB18_702
.LBB18_699:                             ; =>This Inner Loop Header: Depth=1
	v_add_u32_e32 v66, v64, v53
	v_lshrrev_b32_e32 v66, 1, v66
	v_not_b32_e32 v68, v66
	v_lshl_add_u32 v67, v66, 3, v52
	v_lshl_add_u32 v68, v68, 3, v65
	ds_read_b32 v69, v67
	ds_read_b32 v70, v68
	s_or_b64 s[18:19], s[18:19], exec
	s_waitcnt lgkmcnt(0)
	v_cmp_nlt_f32_e64 s[8:9], v70, v69
	s_and_saveexec_b64 s[20:21], s[8:9]
	s_cbranch_execz .LBB18_698
; %bb.700:                              ;   in Loop: Header=BB18_699 Depth=1
	v_cmp_nlt_f32_e64 s[8:9], v69, v70
	s_mov_b64 s[22:23], 0
	s_and_saveexec_b64 s[24:25], s[8:9]
	s_cbranch_execz .LBB18_697
; %bb.701:                              ;   in Loop: Header=BB18_699 Depth=1
	ds_read_b32 v68, v68 offset:4
	ds_read_b32 v67, v67 offset:4
	s_waitcnt lgkmcnt(0)
	v_cmp_lt_f32_e64 s[8:9], v68, v67
	s_and_b64 s[22:23], s[8:9], exec
	s_branch .LBB18_697
.LBB18_702:
	s_or_b64 exec, exec, s[16:17]
.LBB18_703:
	s_or_b64 exec, exec, s[12:13]
	v_add_u32_e32 v55, v1, v55
	v_add_u32_e32 v54, v53, v54
	v_sub_u32_e32 v55, v55, v53
	v_cmp_le_u32_e64 s[8:9], v54, v1
	v_cmp_le_u32_e64 s[12:13], v55, v51
	s_or_b64 s[8:9], s[8:9], s[12:13]
	s_and_saveexec_b64 s[16:17], s[8:9]
	s_cbranch_execz .LBB18_757
; %bb.704:
	v_cmp_ge_u32_e64 s[8:9], v54, v1
	v_cmp_lt_u32_e64 s[12:13], v54, v1
	v_mov_b32_e32 v2, 0
	v_mov_b32_e32 v8, 0
	v_mov_b32_e32 v9, 0
	s_and_saveexec_b64 s[18:19], s[12:13]
	s_cbranch_execz .LBB18_706
; %bb.705:
	v_lshl_add_u32 v3, v53, 3, v52
	ds_read_b64 v[8:9], v3
.LBB18_706:
	s_or_b64 exec, exec, s[18:19]
	v_cmp_ge_u32_e64 s[18:19], v55, v51
	v_cmp_lt_u32_e64 s[12:13], v55, v51
	v_mov_b32_e32 v3, 0
	s_and_saveexec_b64 s[20:21], s[12:13]
	s_cbranch_execz .LBB18_708
; %bb.707:
	v_lshl_add_u32 v2, v55, 3, v39
	ds_read_b64 v[2:3], v2
.LBB18_708:
	s_or_b64 exec, exec, s[20:21]
	s_or_b64 s[8:9], s[8:9], s[18:19]
	s_mov_b64 s[20:21], -1
	s_xor_b64 s[8:9], s[8:9], -1
	s_and_saveexec_b64 s[12:13], s[8:9]
	s_cbranch_execz .LBB18_714
; %bb.709:
	s_waitcnt lgkmcnt(0)
	v_cmp_nlt_f32_e64 s[8:9], v2, v8
	s_mov_b64 s[24:25], 0
	s_and_saveexec_b64 s[22:23], s[8:9]
	s_cbranch_execz .LBB18_713
; %bb.710:
	v_cmp_nlt_f32_e64 s[8:9], v8, v2
	s_mov_b64 s[24:25], -1
	s_and_saveexec_b64 s[26:27], s[8:9]
; %bb.711:
	v_cmp_nlt_f32_e64 s[8:9], v3, v9
	s_orn2_b64 s[24:25], s[8:9], exec
; %bb.712:
	s_or_b64 exec, exec, s[26:27]
	s_and_b64 s[24:25], s[24:25], exec
.LBB18_713:
	s_or_b64 exec, exec, s[22:23]
	s_andn2_b64 s[8:9], s[18:19], exec
	s_and_b64 s[18:19], s[24:25], exec
	s_or_b64 s[18:19], s[8:9], s[18:19]
.LBB18_714:
	s_or_b64 exec, exec, s[12:13]
	v_cndmask_b32_e64 v6, v55, v54, s[18:19]
	v_cndmask_b32_e64 v7, v51, v1, s[18:19]
	v_add_u32_e32 v10, 1, v6
	v_add_u32_e32 v6, -1, v7
	v_min_u32_e32 v6, v10, v6
	v_lshl_add_u32 v6, v6, 3, v39
	ds_read_b64 v[6:7], v6
	s_waitcnt lgkmcnt(0)
	v_cndmask_b32_e64 v18, v6, v2, s[18:19]
	v_cndmask_b32_e64 v20, v8, v6, s[18:19]
	;; [unrolled: 1-line block ×6, first 2 shown]
	v_cmp_lt_u32_e64 s[8:9], v6, v51
	s_and_saveexec_b64 s[22:23], s[8:9]
	s_cbranch_execz .LBB18_720
; %bb.715:
	v_cmp_lt_u32_e64 s[8:9], v7, v1
	v_cmp_nlt_f32_e64 s[12:13], v18, v20
	s_and_b64 s[20:21], s[8:9], s[12:13]
	s_mov_b64 s[8:9], 0
	s_and_saveexec_b64 s[12:13], s[20:21]
	s_cbranch_execz .LBB18_719
; %bb.716:
	v_cmp_nlt_f32_e64 s[8:9], v20, v18
	s_mov_b64 s[20:21], -1
	s_and_saveexec_b64 s[24:25], s[8:9]
; %bb.717:
	v_cmp_nlt_f32_e64 s[8:9], v19, v21
	s_orn2_b64 s[20:21], s[8:9], exec
; %bb.718:
	s_or_b64 exec, exec, s[24:25]
	s_and_b64 s[8:9], s[20:21], exec
.LBB18_719:
	s_or_b64 exec, exec, s[12:13]
	s_orn2_b64 s[20:21], s[8:9], exec
.LBB18_720:
	s_or_b64 exec, exec, s[22:23]
	v_cndmask_b32_e64 v10, v6, v7, s[20:21]
	v_cndmask_b32_e64 v11, v51, v1, s[20:21]
	v_add_u32_e32 v12, 1, v10
	v_add_u32_e32 v10, -1, v11
	v_min_u32_e32 v10, v12, v10
	v_lshl_add_u32 v10, v10, 3, v39
	ds_read_b64 v[10:11], v10
	v_cndmask_b32_e64 v6, v12, v6, s[20:21]
	v_cndmask_b32_e64 v7, v7, v12, s[20:21]
	v_cmp_lt_u32_e64 s[8:9], v6, v51
	s_mov_b64 s[24:25], -1
	s_waitcnt lgkmcnt(0)
	v_cndmask_b32_e64 v14, v10, v18, s[20:21]
	v_cndmask_b32_e64 v15, v11, v19, s[20:21]
	;; [unrolled: 1-line block ×4, first 2 shown]
	s_mov_b64 s[22:23], -1
	s_and_saveexec_b64 s[26:27], s[8:9]
	s_cbranch_execz .LBB18_726
; %bb.721:
	v_cmp_lt_u32_e64 s[8:9], v7, v1
	v_cmp_nlt_f32_e64 s[12:13], v14, v28
	s_and_b64 s[22:23], s[8:9], s[12:13]
	s_mov_b64 s[8:9], 0
	s_and_saveexec_b64 s[12:13], s[22:23]
	s_cbranch_execz .LBB18_725
; %bb.722:
	v_cmp_nlt_f32_e64 s[8:9], v28, v14
	s_mov_b64 s[22:23], -1
	s_and_saveexec_b64 s[30:31], s[8:9]
; %bb.723:
	v_cmp_nlt_f32_e64 s[8:9], v15, v29
	s_orn2_b64 s[22:23], s[8:9], exec
; %bb.724:
	s_or_b64 exec, exec, s[30:31]
	s_and_b64 s[8:9], s[22:23], exec
.LBB18_725:
	s_or_b64 exec, exec, s[12:13]
	s_orn2_b64 s[22:23], s[8:9], exec
.LBB18_726:
	s_or_b64 exec, exec, s[26:27]
	v_cndmask_b32_e64 v10, v6, v7, s[22:23]
	v_cndmask_b32_e64 v11, v51, v1, s[22:23]
	v_add_u32_e32 v12, 1, v10
	v_add_u32_e32 v10, -1, v11
	v_min_u32_e32 v10, v12, v10
	v_lshl_add_u32 v10, v10, 3, v39
	ds_read_b64 v[10:11], v10
	v_cndmask_b32_e64 v6, v12, v6, s[22:23]
	v_cndmask_b32_e64 v7, v7, v12, s[22:23]
	v_cmp_lt_u32_e64 s[8:9], v6, v51
	s_waitcnt lgkmcnt(0)
	v_cndmask_b32_e64 v16, v10, v14, s[22:23]
	v_cndmask_b32_e64 v17, v11, v15, s[22:23]
	;; [unrolled: 1-line block ×4, first 2 shown]
	s_and_saveexec_b64 s[26:27], s[8:9]
	s_cbranch_execz .LBB18_732
; %bb.727:
	v_cmp_lt_u32_e64 s[8:9], v7, v1
	v_cmp_nlt_f32_e64 s[12:13], v16, v26
	s_and_b64 s[24:25], s[8:9], s[12:13]
	s_mov_b64 s[8:9], 0
	s_and_saveexec_b64 s[12:13], s[24:25]
	s_cbranch_execz .LBB18_731
; %bb.728:
	v_cmp_nlt_f32_e64 s[8:9], v26, v16
	s_mov_b64 s[24:25], -1
	s_and_saveexec_b64 s[30:31], s[8:9]
; %bb.729:
	v_cmp_nlt_f32_e64 s[8:9], v17, v27
	s_orn2_b64 s[24:25], s[8:9], exec
; %bb.730:
	s_or_b64 exec, exec, s[30:31]
	s_and_b64 s[8:9], s[24:25], exec
.LBB18_731:
	s_or_b64 exec, exec, s[12:13]
	s_orn2_b64 s[24:25], s[8:9], exec
.LBB18_732:
	s_or_b64 exec, exec, s[26:27]
	v_cndmask_b32_e64 v10, v6, v7, s[24:25]
	v_cndmask_b32_e64 v11, v51, v1, s[24:25]
	v_add_u32_e32 v24, 1, v10
	v_add_u32_e32 v10, -1, v11
	v_min_u32_e32 v10, v24, v10
	v_lshl_add_u32 v10, v10, 3, v39
	ds_read_b64 v[12:13], v10
	v_cndmask_b32_e64 v6, v24, v6, s[24:25]
	v_cndmask_b32_e64 v7, v7, v24, s[24:25]
	v_cmp_lt_u32_e64 s[8:9], v6, v51
	s_mov_b64 s[30:31], -1
	s_waitcnt lgkmcnt(0)
	v_cndmask_b32_e64 v10, v12, v16, s[24:25]
	v_cndmask_b32_e64 v11, v13, v17, s[24:25]
	;; [unrolled: 1-line block ×4, first 2 shown]
	s_mov_b64 s[26:27], -1
	s_and_saveexec_b64 s[34:35], s[8:9]
	s_cbranch_execz .LBB18_738
; %bb.733:
	v_cmp_lt_u32_e64 s[8:9], v7, v1
	v_cmp_nlt_f32_e64 s[12:13], v10, v52
	s_and_b64 s[26:27], s[8:9], s[12:13]
	s_mov_b64 s[8:9], 0
	s_and_saveexec_b64 s[12:13], s[26:27]
	s_cbranch_execz .LBB18_737
; %bb.734:
	v_cmp_nlt_f32_e64 s[8:9], v52, v10
	s_mov_b64 s[26:27], -1
	s_and_saveexec_b64 s[38:39], s[8:9]
; %bb.735:
	v_cmp_nlt_f32_e64 s[8:9], v11, v53
	s_orn2_b64 s[26:27], s[8:9], exec
; %bb.736:
	s_or_b64 exec, exec, s[38:39]
	s_and_b64 s[8:9], s[26:27], exec
.LBB18_737:
	s_or_b64 exec, exec, s[12:13]
	s_orn2_b64 s[26:27], s[8:9], exec
.LBB18_738:
	s_or_b64 exec, exec, s[34:35]
	v_cndmask_b32_e64 v12, v6, v7, s[26:27]
	v_cndmask_b32_e64 v13, v51, v1, s[26:27]
	v_add_u32_e32 v54, 1, v12
	v_add_u32_e32 v12, -1, v13
	v_min_u32_e32 v12, v54, v12
	v_lshl_add_u32 v12, v12, 3, v39
	ds_read_b64 v[24:25], v12
	v_cndmask_b32_e64 v64, v54, v6, s[26:27]
	v_cndmask_b32_e64 v65, v7, v54, s[26:27]
	v_cmp_lt_u32_e64 s[8:9], v64, v51
	s_waitcnt lgkmcnt(0)
	v_cndmask_b32_e64 v12, v24, v10, s[26:27]
	v_cndmask_b32_e64 v13, v25, v11, s[26:27]
	;; [unrolled: 1-line block ×4, first 2 shown]
	s_and_saveexec_b64 s[34:35], s[8:9]
	s_cbranch_execz .LBB18_744
; %bb.739:
	v_cmp_lt_u32_e64 s[8:9], v65, v1
	v_cmp_nlt_f32_e64 s[12:13], v12, v24
	s_and_b64 s[30:31], s[8:9], s[12:13]
	s_mov_b64 s[8:9], 0
	s_and_saveexec_b64 s[12:13], s[30:31]
	s_cbranch_execz .LBB18_743
; %bb.740:
	v_cmp_nlt_f32_e64 s[8:9], v24, v12
	s_mov_b64 s[30:31], -1
	s_and_saveexec_b64 s[38:39], s[8:9]
; %bb.741:
	v_cmp_nlt_f32_e64 s[8:9], v13, v25
	s_orn2_b64 s[30:31], s[8:9], exec
; %bb.742:
	s_or_b64 exec, exec, s[38:39]
	s_and_b64 s[8:9], s[30:31], exec
.LBB18_743:
	s_or_b64 exec, exec, s[12:13]
	s_orn2_b64 s[30:31], s[8:9], exec
.LBB18_744:
	s_or_b64 exec, exec, s[34:35]
	v_cndmask_b32_e64 v6, v64, v65, s[30:31]
	v_cndmask_b32_e64 v7, v51, v1, s[30:31]
	v_add_u32_e32 v66, 1, v6
	v_add_u32_e32 v6, -1, v7
	v_min_u32_e32 v6, v66, v6
	v_lshl_add_u32 v6, v6, 3, v39
	ds_read_b64 v[54:55], v6
	v_cndmask_b32_e64 v69, v66, v64, s[30:31]
	v_cndmask_b32_e64 v68, v65, v66, s[30:31]
	v_cmp_lt_u32_e64 s[8:9], v69, v51
	s_mov_b64 s[34:35], -1
	s_waitcnt lgkmcnt(0)
	v_cndmask_b32_e64 v6, v54, v12, s[30:31]
	v_cndmask_b32_e64 v7, v55, v13, s[30:31]
	;; [unrolled: 1-line block ×4, first 2 shown]
	s_mov_b64 s[38:39], -1
	s_and_saveexec_b64 s[40:41], s[8:9]
	s_cbranch_execz .LBB18_750
; %bb.745:
	v_cmp_lt_u32_e64 s[8:9], v68, v1
	v_cmp_nlt_f32_e64 s[12:13], v6, v54
	s_and_b64 s[38:39], s[8:9], s[12:13]
	s_mov_b64 s[8:9], 0
	s_and_saveexec_b64 s[12:13], s[38:39]
	s_cbranch_execz .LBB18_749
; %bb.746:
	v_cmp_nlt_f32_e64 s[8:9], v54, v6
	s_mov_b64 s[38:39], -1
	s_and_saveexec_b64 s[42:43], s[8:9]
; %bb.747:
	v_cmp_nlt_f32_e64 s[8:9], v7, v55
	s_orn2_b64 s[38:39], s[8:9], exec
; %bb.748:
	s_or_b64 exec, exec, s[42:43]
	s_and_b64 s[8:9], s[38:39], exec
.LBB18_749:
	s_or_b64 exec, exec, s[12:13]
	s_orn2_b64 s[38:39], s[8:9], exec
.LBB18_750:
	s_or_b64 exec, exec, s[40:41]
	v_cndmask_b32_e64 v64, v69, v68, s[38:39]
	v_cndmask_b32_e64 v65, v51, v1, s[38:39]
	v_add_u32_e32 v70, 1, v64
	v_add_u32_e32 v64, -1, v65
	v_min_u32_e32 v64, v70, v64
	v_lshl_add_u32 v64, v64, 3, v39
	ds_read_b64 v[66:67], v64
	v_cndmask_b32_e64 v69, v70, v69, s[38:39]
	v_cmp_lt_u32_e64 s[8:9], v69, v51
	s_waitcnt lgkmcnt(0)
	v_cndmask_b32_e64 v64, v66, v6, s[38:39]
	v_cndmask_b32_e64 v65, v67, v7, s[38:39]
	;; [unrolled: 1-line block ×4, first 2 shown]
	s_and_saveexec_b64 s[40:41], s[8:9]
	s_cbranch_execz .LBB18_756
; %bb.751:
	v_cndmask_b32_e64 v51, v68, v70, s[38:39]
	v_cmp_lt_u32_e64 s[8:9], v51, v1
	v_cmp_nlt_f32_e64 s[12:13], v64, v66
	s_and_b64 s[34:35], s[8:9], s[12:13]
	s_mov_b64 s[8:9], 0
	s_and_saveexec_b64 s[12:13], s[34:35]
	s_cbranch_execz .LBB18_755
; %bb.752:
	v_cmp_nlt_f32_e64 s[8:9], v66, v64
	s_mov_b64 s[34:35], -1
	s_and_saveexec_b64 s[42:43], s[8:9]
; %bb.753:
	v_cmp_nlt_f32_e64 s[8:9], v65, v67
	s_orn2_b64 s[34:35], s[8:9], exec
; %bb.754:
	s_or_b64 exec, exec, s[42:43]
	s_and_b64 s[8:9], s[34:35], exec
.LBB18_755:
	s_or_b64 exec, exec, s[12:13]
	s_orn2_b64 s[34:35], s[8:9], exec
.LBB18_756:
	s_or_b64 exec, exec, s[40:41]
	v_cndmask_b32_e64 v13, v13, v25, s[30:31]
	v_cndmask_b32_e64 v12, v12, v24, s[30:31]
	;; [unrolled: 1-line block ×10, first 2 shown]
	v_mov_b32_e32 v24, v13
	v_mov_b32_e32 v25, v12
	v_cndmask_b32_e64 v11, v11, v53, s[26:27]
	v_cndmask_b32_e64 v10, v10, v52, s[26:27]
	v_mov_b32_e32 v26, v17
	v_mov_b32_e32 v27, v16
	v_cndmask_b32_e64 v15, v15, v29, s[22:23]
	v_cndmask_b32_e64 v14, v14, v28, s[22:23]
	v_mov_b32_e32 v28, v21
	v_mov_b32_e32 v29, v20
	;; [unrolled: 1-line block ×4, first 2 shown]
	v_cndmask_b32_e64 v9, v65, v67, s[34:35]
	v_cndmask_b32_e64 v8, v64, v66, s[34:35]
.LBB18_757:
	s_or_b64 exec, exec, s[16:17]
	v_and_b32_e32 v53, 0x3c0, v50
	v_or_b32_e32 v1, 32, v53
	v_min_u32_e32 v1, v48, v1
	v_add_u32_e32 v51, 32, v1
	v_min_u32_e32 v51, v48, v51
	v_and_b32_e32 v52, 56, v50
	v_min_u32_e32 v54, v48, v52
	v_sub_u32_e32 v64, v1, v53
	v_sub_u32_e32 v55, v51, v1
	v_sub_u32_e64 v55, v54, v55 clamp
	v_min_u32_e32 v64, v54, v64
	v_lshl_add_u32 v52, v53, 3, v39
	v_cmp_lt_u32_e64 s[8:9], v55, v64
	; wave barrier
	ds_write_b128 v49, v[18:21]
	ds_write_b128 v49, v[14:17] offset:16
	ds_write_b128 v49, v[10:13] offset:32
	;; [unrolled: 1-line block ×3, first 2 shown]
	; wave barrier
	s_and_saveexec_b64 s[12:13], s[8:9]
	s_cbranch_execz .LBB18_765
; %bb.758:
	v_lshlrev_b32_e32 v65, 3, v1
	v_lshlrev_b32_e32 v66, 3, v54
	v_add3_u32 v65, v39, v65, v66
	s_mov_b64 s[16:17], 0
                                        ; implicit-def: $sgpr18_sgpr19
	s_branch .LBB18_761
.LBB18_759:                             ;   in Loop: Header=BB18_761 Depth=1
	s_or_b64 exec, exec, s[24:25]
	s_andn2_b64 s[8:9], s[18:19], exec
	s_and_b64 s[18:19], s[22:23], exec
	s_or_b64 s[18:19], s[8:9], s[18:19]
.LBB18_760:                             ;   in Loop: Header=BB18_761 Depth=1
	s_or_b64 exec, exec, s[20:21]
	v_add_u32_e32 v67, 1, v66
	v_cndmask_b32_e64 v64, v64, v66, s[18:19]
	v_cndmask_b32_e64 v55, v67, v55, s[18:19]
	v_cmp_ge_u32_e64 s[8:9], v55, v64
	s_or_b64 s[16:17], s[8:9], s[16:17]
	s_andn2_b64 exec, exec, s[16:17]
	s_cbranch_execz .LBB18_764
.LBB18_761:                             ; =>This Inner Loop Header: Depth=1
	v_add_u32_e32 v66, v64, v55
	v_lshrrev_b32_e32 v66, 1, v66
	v_not_b32_e32 v68, v66
	v_lshl_add_u32 v67, v66, 3, v52
	v_lshl_add_u32 v68, v68, 3, v65
	ds_read_b32 v69, v67
	ds_read_b32 v70, v68
	s_or_b64 s[18:19], s[18:19], exec
	s_waitcnt lgkmcnt(0)
	v_cmp_nlt_f32_e64 s[8:9], v70, v69
	s_and_saveexec_b64 s[20:21], s[8:9]
	s_cbranch_execz .LBB18_760
; %bb.762:                              ;   in Loop: Header=BB18_761 Depth=1
	v_cmp_nlt_f32_e64 s[8:9], v69, v70
	s_mov_b64 s[22:23], 0
	s_and_saveexec_b64 s[24:25], s[8:9]
	s_cbranch_execz .LBB18_759
; %bb.763:                              ;   in Loop: Header=BB18_761 Depth=1
	ds_read_b32 v68, v68 offset:4
	ds_read_b32 v67, v67 offset:4
	s_waitcnt lgkmcnt(0)
	v_cmp_lt_f32_e64 s[8:9], v68, v67
	s_and_b64 s[22:23], s[8:9], exec
	s_branch .LBB18_759
.LBB18_764:
	s_or_b64 exec, exec, s[16:17]
.LBB18_765:
	s_or_b64 exec, exec, s[12:13]
	v_add_u32_e32 v54, v1, v54
	v_add_u32_e32 v53, v55, v53
	v_sub_u32_e32 v54, v54, v55
	v_cmp_le_u32_e64 s[8:9], v53, v1
	v_cmp_le_u32_e64 s[12:13], v54, v51
	s_or_b64 s[8:9], s[8:9], s[12:13]
	s_and_saveexec_b64 s[16:17], s[8:9]
	s_cbranch_execz .LBB18_819
; %bb.766:
	v_cmp_ge_u32_e64 s[8:9], v53, v1
	v_cmp_lt_u32_e64 s[12:13], v53, v1
	v_mov_b32_e32 v2, 0
	v_mov_b32_e32 v8, 0
	;; [unrolled: 1-line block ×3, first 2 shown]
	s_and_saveexec_b64 s[18:19], s[12:13]
	s_cbranch_execz .LBB18_768
; %bb.767:
	v_lshl_add_u32 v3, v55, 3, v52
	ds_read_b64 v[8:9], v3
.LBB18_768:
	s_or_b64 exec, exec, s[18:19]
	v_cmp_ge_u32_e64 s[18:19], v54, v51
	v_cmp_lt_u32_e64 s[12:13], v54, v51
	v_mov_b32_e32 v3, 0
	s_and_saveexec_b64 s[20:21], s[12:13]
	s_cbranch_execz .LBB18_770
; %bb.769:
	v_lshl_add_u32 v2, v54, 3, v39
	ds_read_b64 v[2:3], v2
.LBB18_770:
	s_or_b64 exec, exec, s[20:21]
	s_or_b64 s[8:9], s[8:9], s[18:19]
	s_mov_b64 s[20:21], -1
	s_xor_b64 s[8:9], s[8:9], -1
	s_and_saveexec_b64 s[12:13], s[8:9]
	s_cbranch_execz .LBB18_776
; %bb.771:
	s_waitcnt lgkmcnt(0)
	v_cmp_nlt_f32_e64 s[8:9], v2, v8
	s_mov_b64 s[24:25], 0
	s_and_saveexec_b64 s[22:23], s[8:9]
	s_cbranch_execz .LBB18_775
; %bb.772:
	v_cmp_nlt_f32_e64 s[8:9], v8, v2
	s_mov_b64 s[24:25], -1
	s_and_saveexec_b64 s[26:27], s[8:9]
; %bb.773:
	v_cmp_nlt_f32_e64 s[8:9], v3, v9
	s_orn2_b64 s[24:25], s[8:9], exec
; %bb.774:
	s_or_b64 exec, exec, s[26:27]
	s_and_b64 s[24:25], s[24:25], exec
.LBB18_775:
	s_or_b64 exec, exec, s[22:23]
	s_andn2_b64 s[8:9], s[18:19], exec
	s_and_b64 s[18:19], s[24:25], exec
	s_or_b64 s[18:19], s[8:9], s[18:19]
.LBB18_776:
	s_or_b64 exec, exec, s[12:13]
	v_cndmask_b32_e64 v6, v54, v53, s[18:19]
	v_cndmask_b32_e64 v7, v51, v1, s[18:19]
	v_add_u32_e32 v10, 1, v6
	v_add_u32_e32 v6, -1, v7
	v_min_u32_e32 v6, v10, v6
	v_lshl_add_u32 v6, v6, 3, v39
	ds_read_b64 v[6:7], v6
	s_waitcnt lgkmcnt(0)
	v_cndmask_b32_e64 v18, v6, v2, s[18:19]
	v_cndmask_b32_e64 v20, v8, v6, s[18:19]
	;; [unrolled: 1-line block ×6, first 2 shown]
	v_cmp_lt_u32_e64 s[8:9], v6, v51
	s_and_saveexec_b64 s[22:23], s[8:9]
	s_cbranch_execz .LBB18_782
; %bb.777:
	v_cmp_lt_u32_e64 s[8:9], v7, v1
	v_cmp_nlt_f32_e64 s[12:13], v18, v20
	s_and_b64 s[20:21], s[8:9], s[12:13]
	s_mov_b64 s[8:9], 0
	s_and_saveexec_b64 s[12:13], s[20:21]
	s_cbranch_execz .LBB18_781
; %bb.778:
	v_cmp_nlt_f32_e64 s[8:9], v20, v18
	s_mov_b64 s[20:21], -1
	s_and_saveexec_b64 s[24:25], s[8:9]
; %bb.779:
	v_cmp_nlt_f32_e64 s[8:9], v19, v21
	s_orn2_b64 s[20:21], s[8:9], exec
; %bb.780:
	s_or_b64 exec, exec, s[24:25]
	s_and_b64 s[8:9], s[20:21], exec
.LBB18_781:
	s_or_b64 exec, exec, s[12:13]
	s_orn2_b64 s[20:21], s[8:9], exec
.LBB18_782:
	s_or_b64 exec, exec, s[22:23]
	v_cndmask_b32_e64 v10, v6, v7, s[20:21]
	v_cndmask_b32_e64 v11, v51, v1, s[20:21]
	v_add_u32_e32 v12, 1, v10
	v_add_u32_e32 v10, -1, v11
	v_min_u32_e32 v10, v12, v10
	v_lshl_add_u32 v10, v10, 3, v39
	ds_read_b64 v[10:11], v10
	v_cndmask_b32_e64 v6, v12, v6, s[20:21]
	v_cndmask_b32_e64 v7, v7, v12, s[20:21]
	v_cmp_lt_u32_e64 s[8:9], v6, v51
	s_mov_b64 s[24:25], -1
	s_waitcnt lgkmcnt(0)
	v_cndmask_b32_e64 v14, v10, v18, s[20:21]
	v_cndmask_b32_e64 v15, v11, v19, s[20:21]
	;; [unrolled: 1-line block ×4, first 2 shown]
	s_mov_b64 s[22:23], -1
	s_and_saveexec_b64 s[26:27], s[8:9]
	s_cbranch_execz .LBB18_788
; %bb.783:
	v_cmp_lt_u32_e64 s[8:9], v7, v1
	v_cmp_nlt_f32_e64 s[12:13], v14, v28
	s_and_b64 s[22:23], s[8:9], s[12:13]
	s_mov_b64 s[8:9], 0
	s_and_saveexec_b64 s[12:13], s[22:23]
	s_cbranch_execz .LBB18_787
; %bb.784:
	v_cmp_nlt_f32_e64 s[8:9], v28, v14
	s_mov_b64 s[22:23], -1
	s_and_saveexec_b64 s[30:31], s[8:9]
; %bb.785:
	v_cmp_nlt_f32_e64 s[8:9], v15, v29
	s_orn2_b64 s[22:23], s[8:9], exec
; %bb.786:
	s_or_b64 exec, exec, s[30:31]
	s_and_b64 s[8:9], s[22:23], exec
.LBB18_787:
	s_or_b64 exec, exec, s[12:13]
	s_orn2_b64 s[22:23], s[8:9], exec
.LBB18_788:
	s_or_b64 exec, exec, s[26:27]
	v_cndmask_b32_e64 v10, v6, v7, s[22:23]
	v_cndmask_b32_e64 v11, v51, v1, s[22:23]
	v_add_u32_e32 v12, 1, v10
	v_add_u32_e32 v10, -1, v11
	v_min_u32_e32 v10, v12, v10
	v_lshl_add_u32 v10, v10, 3, v39
	ds_read_b64 v[10:11], v10
	v_cndmask_b32_e64 v6, v12, v6, s[22:23]
	v_cndmask_b32_e64 v7, v7, v12, s[22:23]
	v_cmp_lt_u32_e64 s[8:9], v6, v51
	s_waitcnt lgkmcnt(0)
	v_cndmask_b32_e64 v16, v10, v14, s[22:23]
	v_cndmask_b32_e64 v17, v11, v15, s[22:23]
	;; [unrolled: 1-line block ×4, first 2 shown]
	s_and_saveexec_b64 s[26:27], s[8:9]
	s_cbranch_execz .LBB18_794
; %bb.789:
	v_cmp_lt_u32_e64 s[8:9], v7, v1
	v_cmp_nlt_f32_e64 s[12:13], v16, v26
	s_and_b64 s[24:25], s[8:9], s[12:13]
	s_mov_b64 s[8:9], 0
	s_and_saveexec_b64 s[12:13], s[24:25]
	s_cbranch_execz .LBB18_793
; %bb.790:
	v_cmp_nlt_f32_e64 s[8:9], v26, v16
	s_mov_b64 s[24:25], -1
	s_and_saveexec_b64 s[30:31], s[8:9]
; %bb.791:
	v_cmp_nlt_f32_e64 s[8:9], v17, v27
	s_orn2_b64 s[24:25], s[8:9], exec
; %bb.792:
	s_or_b64 exec, exec, s[30:31]
	s_and_b64 s[8:9], s[24:25], exec
.LBB18_793:
	s_or_b64 exec, exec, s[12:13]
	s_orn2_b64 s[24:25], s[8:9], exec
.LBB18_794:
	s_or_b64 exec, exec, s[26:27]
	v_cndmask_b32_e64 v10, v6, v7, s[24:25]
	v_cndmask_b32_e64 v11, v51, v1, s[24:25]
	v_add_u32_e32 v24, 1, v10
	v_add_u32_e32 v10, -1, v11
	v_min_u32_e32 v10, v24, v10
	v_lshl_add_u32 v10, v10, 3, v39
	ds_read_b64 v[12:13], v10
	v_cndmask_b32_e64 v6, v24, v6, s[24:25]
	v_cndmask_b32_e64 v7, v7, v24, s[24:25]
	v_cmp_lt_u32_e64 s[8:9], v6, v51
	s_mov_b64 s[30:31], -1
	s_waitcnt lgkmcnt(0)
	v_cndmask_b32_e64 v10, v12, v16, s[24:25]
	v_cndmask_b32_e64 v11, v13, v17, s[24:25]
	;; [unrolled: 1-line block ×4, first 2 shown]
	s_mov_b64 s[26:27], -1
	s_and_saveexec_b64 s[34:35], s[8:9]
	s_cbranch_execz .LBB18_800
; %bb.795:
	v_cmp_lt_u32_e64 s[8:9], v7, v1
	v_cmp_nlt_f32_e64 s[12:13], v10, v52
	s_and_b64 s[26:27], s[8:9], s[12:13]
	s_mov_b64 s[8:9], 0
	s_and_saveexec_b64 s[12:13], s[26:27]
	s_cbranch_execz .LBB18_799
; %bb.796:
	v_cmp_nlt_f32_e64 s[8:9], v52, v10
	s_mov_b64 s[26:27], -1
	s_and_saveexec_b64 s[38:39], s[8:9]
; %bb.797:
	v_cmp_nlt_f32_e64 s[8:9], v11, v53
	s_orn2_b64 s[26:27], s[8:9], exec
; %bb.798:
	s_or_b64 exec, exec, s[38:39]
	s_and_b64 s[8:9], s[26:27], exec
.LBB18_799:
	s_or_b64 exec, exec, s[12:13]
	s_orn2_b64 s[26:27], s[8:9], exec
.LBB18_800:
	s_or_b64 exec, exec, s[34:35]
	v_cndmask_b32_e64 v12, v6, v7, s[26:27]
	v_cndmask_b32_e64 v13, v51, v1, s[26:27]
	v_add_u32_e32 v54, 1, v12
	v_add_u32_e32 v12, -1, v13
	v_min_u32_e32 v12, v54, v12
	v_lshl_add_u32 v12, v12, 3, v39
	ds_read_b64 v[24:25], v12
	v_cndmask_b32_e64 v64, v54, v6, s[26:27]
	v_cndmask_b32_e64 v65, v7, v54, s[26:27]
	v_cmp_lt_u32_e64 s[8:9], v64, v51
	s_waitcnt lgkmcnt(0)
	v_cndmask_b32_e64 v12, v24, v10, s[26:27]
	v_cndmask_b32_e64 v13, v25, v11, s[26:27]
	;; [unrolled: 1-line block ×4, first 2 shown]
	s_and_saveexec_b64 s[34:35], s[8:9]
	s_cbranch_execz .LBB18_806
; %bb.801:
	v_cmp_lt_u32_e64 s[8:9], v65, v1
	v_cmp_nlt_f32_e64 s[12:13], v12, v24
	s_and_b64 s[30:31], s[8:9], s[12:13]
	s_mov_b64 s[8:9], 0
	s_and_saveexec_b64 s[12:13], s[30:31]
	s_cbranch_execz .LBB18_805
; %bb.802:
	v_cmp_nlt_f32_e64 s[8:9], v24, v12
	s_mov_b64 s[30:31], -1
	s_and_saveexec_b64 s[38:39], s[8:9]
; %bb.803:
	v_cmp_nlt_f32_e64 s[8:9], v13, v25
	s_orn2_b64 s[30:31], s[8:9], exec
; %bb.804:
	s_or_b64 exec, exec, s[38:39]
	s_and_b64 s[8:9], s[30:31], exec
.LBB18_805:
	s_or_b64 exec, exec, s[12:13]
	s_orn2_b64 s[30:31], s[8:9], exec
.LBB18_806:
	s_or_b64 exec, exec, s[34:35]
	v_cndmask_b32_e64 v6, v64, v65, s[30:31]
	v_cndmask_b32_e64 v7, v51, v1, s[30:31]
	v_add_u32_e32 v66, 1, v6
	v_add_u32_e32 v6, -1, v7
	v_min_u32_e32 v6, v66, v6
	v_lshl_add_u32 v6, v6, 3, v39
	ds_read_b64 v[54:55], v6
	v_cndmask_b32_e64 v69, v66, v64, s[30:31]
	v_cndmask_b32_e64 v68, v65, v66, s[30:31]
	v_cmp_lt_u32_e64 s[8:9], v69, v51
	s_mov_b64 s[34:35], -1
	s_waitcnt lgkmcnt(0)
	v_cndmask_b32_e64 v6, v54, v12, s[30:31]
	v_cndmask_b32_e64 v7, v55, v13, s[30:31]
	;; [unrolled: 1-line block ×4, first 2 shown]
	s_mov_b64 s[38:39], -1
	s_and_saveexec_b64 s[40:41], s[8:9]
	s_cbranch_execz .LBB18_812
; %bb.807:
	v_cmp_lt_u32_e64 s[8:9], v68, v1
	v_cmp_nlt_f32_e64 s[12:13], v6, v54
	s_and_b64 s[38:39], s[8:9], s[12:13]
	s_mov_b64 s[8:9], 0
	s_and_saveexec_b64 s[12:13], s[38:39]
	s_cbranch_execz .LBB18_811
; %bb.808:
	v_cmp_nlt_f32_e64 s[8:9], v54, v6
	s_mov_b64 s[38:39], -1
	s_and_saveexec_b64 s[42:43], s[8:9]
; %bb.809:
	v_cmp_nlt_f32_e64 s[8:9], v7, v55
	s_orn2_b64 s[38:39], s[8:9], exec
; %bb.810:
	s_or_b64 exec, exec, s[42:43]
	s_and_b64 s[8:9], s[38:39], exec
.LBB18_811:
	s_or_b64 exec, exec, s[12:13]
	s_orn2_b64 s[38:39], s[8:9], exec
.LBB18_812:
	s_or_b64 exec, exec, s[40:41]
	v_cndmask_b32_e64 v64, v69, v68, s[38:39]
	v_cndmask_b32_e64 v65, v51, v1, s[38:39]
	v_add_u32_e32 v70, 1, v64
	v_add_u32_e32 v64, -1, v65
	v_min_u32_e32 v64, v70, v64
	v_lshl_add_u32 v64, v64, 3, v39
	ds_read_b64 v[66:67], v64
	v_cndmask_b32_e64 v69, v70, v69, s[38:39]
	v_cmp_lt_u32_e64 s[8:9], v69, v51
	s_waitcnt lgkmcnt(0)
	v_cndmask_b32_e64 v64, v66, v6, s[38:39]
	v_cndmask_b32_e64 v65, v67, v7, s[38:39]
	;; [unrolled: 1-line block ×4, first 2 shown]
	s_and_saveexec_b64 s[40:41], s[8:9]
	s_cbranch_execz .LBB18_818
; %bb.813:
	v_cndmask_b32_e64 v51, v68, v70, s[38:39]
	v_cmp_lt_u32_e64 s[8:9], v51, v1
	v_cmp_nlt_f32_e64 s[12:13], v64, v66
	s_and_b64 s[34:35], s[8:9], s[12:13]
	s_mov_b64 s[8:9], 0
	s_and_saveexec_b64 s[12:13], s[34:35]
	s_cbranch_execz .LBB18_817
; %bb.814:
	v_cmp_nlt_f32_e64 s[8:9], v66, v64
	s_mov_b64 s[34:35], -1
	s_and_saveexec_b64 s[42:43], s[8:9]
; %bb.815:
	v_cmp_nlt_f32_e64 s[8:9], v65, v67
	s_orn2_b64 s[34:35], s[8:9], exec
; %bb.816:
	s_or_b64 exec, exec, s[42:43]
	s_and_b64 s[8:9], s[34:35], exec
.LBB18_817:
	s_or_b64 exec, exec, s[12:13]
	s_orn2_b64 s[34:35], s[8:9], exec
.LBB18_818:
	s_or_b64 exec, exec, s[40:41]
	v_cndmask_b32_e64 v13, v13, v25, s[30:31]
	v_cndmask_b32_e64 v12, v12, v24, s[30:31]
	;; [unrolled: 1-line block ×10, first 2 shown]
	v_mov_b32_e32 v24, v13
	v_mov_b32_e32 v25, v12
	v_cndmask_b32_e64 v11, v11, v53, s[26:27]
	v_cndmask_b32_e64 v10, v10, v52, s[26:27]
	v_mov_b32_e32 v26, v17
	v_mov_b32_e32 v27, v16
	v_cndmask_b32_e64 v15, v15, v29, s[22:23]
	v_cndmask_b32_e64 v14, v14, v28, s[22:23]
	v_mov_b32_e32 v28, v21
	v_mov_b32_e32 v29, v20
	;; [unrolled: 1-line block ×4, first 2 shown]
	v_cndmask_b32_e64 v9, v65, v67, s[34:35]
	v_cndmask_b32_e64 v8, v64, v66, s[34:35]
.LBB18_819:
	s_or_b64 exec, exec, s[16:17]
	; wave barrier
	ds_write_b128 v49, v[18:21]
	ds_write_b128 v49, v[14:17] offset:16
	ds_write_b128 v49, v[10:13] offset:32
	;; [unrolled: 1-line block ×3, first 2 shown]
	v_and_b32_e32 v12, 0x380, v50
	v_or_b32_e32 v1, 64, v12
	v_min_u32_e32 v1, v48, v1
	v_add_u32_e32 v13, 64, v1
	v_min_u32_e32 v16, v48, v13
	v_and_b32_e32 v13, 0x78, v50
	v_min_u32_e32 v13, v48, v13
	v_sub_u32_e32 v19, v1, v12
	v_sub_u32_e32 v18, v16, v1
	v_sub_u32_e64 v18, v13, v18 clamp
	v_min_u32_e32 v19, v13, v19
	v_lshl_add_u32 v17, v12, 3, v39
	v_cmp_lt_u32_e64 s[8:9], v18, v19
	; wave barrier
	s_and_saveexec_b64 s[12:13], s[8:9]
	s_cbranch_execz .LBB18_827
; %bb.820:
	v_lshlrev_b32_e32 v20, 3, v1
	v_lshlrev_b32_e32 v21, 3, v13
	v_add3_u32 v20, v39, v20, v21
	s_mov_b64 s[16:17], 0
                                        ; implicit-def: $sgpr18_sgpr19
	s_branch .LBB18_823
.LBB18_821:                             ;   in Loop: Header=BB18_823 Depth=1
	s_or_b64 exec, exec, s[24:25]
	s_andn2_b64 s[8:9], s[18:19], exec
	s_and_b64 s[18:19], s[22:23], exec
	s_or_b64 s[18:19], s[8:9], s[18:19]
.LBB18_822:                             ;   in Loop: Header=BB18_823 Depth=1
	s_or_b64 exec, exec, s[20:21]
	v_add_u32_e32 v48, 1, v21
	v_cndmask_b32_e64 v19, v19, v21, s[18:19]
	v_cndmask_b32_e64 v18, v48, v18, s[18:19]
	v_cmp_ge_u32_e64 s[8:9], v18, v19
	s_or_b64 s[16:17], s[8:9], s[16:17]
	s_andn2_b64 exec, exec, s[16:17]
	s_cbranch_execz .LBB18_826
.LBB18_823:                             ; =>This Inner Loop Header: Depth=1
	v_add_u32_e32 v21, v19, v18
	v_lshrrev_b32_e32 v21, 1, v21
	v_not_b32_e32 v49, v21
	v_lshl_add_u32 v48, v21, 3, v17
	v_lshl_add_u32 v49, v49, 3, v20
	ds_read_b32 v50, v48
	ds_read_b32 v51, v49
	s_or_b64 s[18:19], s[18:19], exec
	s_waitcnt lgkmcnt(0)
	v_cmp_nlt_f32_e64 s[8:9], v51, v50
	s_and_saveexec_b64 s[20:21], s[8:9]
	s_cbranch_execz .LBB18_822
; %bb.824:                              ;   in Loop: Header=BB18_823 Depth=1
	v_cmp_nlt_f32_e64 s[8:9], v50, v51
	s_mov_b64 s[22:23], 0
	s_and_saveexec_b64 s[24:25], s[8:9]
	s_cbranch_execz .LBB18_821
; %bb.825:                              ;   in Loop: Header=BB18_823 Depth=1
	ds_read_b32 v49, v49 offset:4
	ds_read_b32 v48, v48 offset:4
	s_waitcnt lgkmcnt(0)
	v_cmp_lt_f32_e64 s[8:9], v49, v48
	s_and_b64 s[22:23], s[8:9], exec
	s_branch .LBB18_821
.LBB18_826:
	s_or_b64 exec, exec, s[16:17]
.LBB18_827:
	s_or_b64 exec, exec, s[12:13]
	v_add_u32_e32 v19, v18, v12
	v_add_u32_e32 v12, v1, v13
	v_sub_u32_e32 v20, v12, v18
	v_cmp_le_u32_e64 s[8:9], v19, v1
	v_cmp_le_u32_e64 s[12:13], v20, v16
	s_or_b64 s[8:9], s[8:9], s[12:13]
	s_and_saveexec_b64 s[16:17], s[8:9]
	s_cbranch_execz .LBB18_881
; %bb.828:
	v_cmp_ge_u32_e64 s[8:9], v19, v1
	v_cmp_lt_u32_e64 s[12:13], v19, v1
	v_mov_b32_e32 v8, 0
	v_mov_b32_e32 v12, 0
	;; [unrolled: 1-line block ×3, first 2 shown]
	s_and_saveexec_b64 s[18:19], s[12:13]
	s_cbranch_execz .LBB18_830
; %bb.829:
	v_lshl_add_u32 v2, v18, 3, v17
	ds_read_b64 v[12:13], v2
.LBB18_830:
	s_or_b64 exec, exec, s[18:19]
	v_cmp_ge_u32_e64 s[18:19], v20, v16
	v_cmp_lt_u32_e64 s[12:13], v20, v16
	v_mov_b32_e32 v9, 0
	s_and_saveexec_b64 s[20:21], s[12:13]
	s_cbranch_execz .LBB18_832
; %bb.831:
	v_lshl_add_u32 v2, v20, 3, v39
	ds_read_b64 v[8:9], v2
.LBB18_832:
	s_or_b64 exec, exec, s[20:21]
	s_or_b64 s[8:9], s[8:9], s[18:19]
	s_mov_b64 s[20:21], -1
	s_xor_b64 s[8:9], s[8:9], -1
	s_and_saveexec_b64 s[12:13], s[8:9]
	s_cbranch_execz .LBB18_838
; %bb.833:
	s_waitcnt lgkmcnt(0)
	v_cmp_nlt_f32_e64 s[8:9], v8, v12
	s_mov_b64 s[24:25], 0
	s_and_saveexec_b64 s[22:23], s[8:9]
	s_cbranch_execz .LBB18_837
; %bb.834:
	v_cmp_nlt_f32_e64 s[8:9], v12, v8
	s_mov_b64 s[24:25], -1
	s_and_saveexec_b64 s[26:27], s[8:9]
; %bb.835:
	v_cmp_nlt_f32_e64 s[8:9], v9, v13
	s_orn2_b64 s[24:25], s[8:9], exec
; %bb.836:
	s_or_b64 exec, exec, s[26:27]
	s_and_b64 s[24:25], s[24:25], exec
.LBB18_837:
	s_or_b64 exec, exec, s[22:23]
	s_andn2_b64 s[8:9], s[18:19], exec
	s_and_b64 s[18:19], s[24:25], exec
	s_or_b64 s[18:19], s[8:9], s[18:19]
.LBB18_838:
	s_or_b64 exec, exec, s[12:13]
	v_cndmask_b32_e64 v2, v20, v19, s[18:19]
	v_cndmask_b32_e64 v3, v16, v1, s[18:19]
	v_add_u32_e32 v10, 1, v2
	v_add_u32_e32 v2, -1, v3
	v_min_u32_e32 v2, v10, v2
	v_lshl_add_u32 v2, v2, 3, v39
	ds_read_b64 v[6:7], v2
	s_waitcnt lgkmcnt(0)
	v_cndmask_b32_e64 v2, v6, v8, s[18:19]
	v_cndmask_b32_e64 v17, v12, v6, s[18:19]
	;; [unrolled: 1-line block ×6, first 2 shown]
	v_cmp_lt_u32_e64 s[8:9], v6, v16
	s_and_saveexec_b64 s[22:23], s[8:9]
	s_cbranch_execz .LBB18_844
; %bb.839:
	v_cmp_lt_u32_e64 s[8:9], v7, v1
	v_cmp_nlt_f32_e64 s[12:13], v2, v17
	s_and_b64 s[20:21], s[8:9], s[12:13]
	s_mov_b64 s[8:9], 0
	s_and_saveexec_b64 s[12:13], s[20:21]
	s_cbranch_execz .LBB18_843
; %bb.840:
	v_cmp_nlt_f32_e64 s[8:9], v17, v2
	s_mov_b64 s[20:21], -1
	s_and_saveexec_b64 s[24:25], s[8:9]
; %bb.841:
	v_cmp_nlt_f32_e64 s[8:9], v3, v18
	s_orn2_b64 s[20:21], s[8:9], exec
; %bb.842:
	s_or_b64 exec, exec, s[24:25]
	s_and_b64 s[8:9], s[20:21], exec
.LBB18_843:
	s_or_b64 exec, exec, s[12:13]
	s_orn2_b64 s[20:21], s[8:9], exec
.LBB18_844:
	s_or_b64 exec, exec, s[22:23]
	v_cndmask_b32_e64 v10, v6, v7, s[20:21]
	v_cndmask_b32_e64 v11, v16, v1, s[20:21]
	v_add_u32_e32 v21, 1, v10
	v_add_u32_e32 v10, -1, v11
	v_min_u32_e32 v10, v21, v10
	v_lshl_add_u32 v10, v10, 3, v39
	ds_read_b64 v[10:11], v10
	v_cndmask_b32_e64 v6, v21, v6, s[20:21]
	v_cndmask_b32_e64 v7, v7, v21, s[20:21]
	v_cmp_lt_u32_e64 s[8:9], v6, v16
	s_mov_b64 s[24:25], -1
	s_waitcnt lgkmcnt(0)
	v_cndmask_b32_e64 v14, v10, v2, s[20:21]
	v_cndmask_b32_e64 v15, v11, v3, s[20:21]
	;; [unrolled: 1-line block ×4, first 2 shown]
	s_mov_b64 s[22:23], -1
	s_and_saveexec_b64 s[26:27], s[8:9]
	s_cbranch_execz .LBB18_850
; %bb.845:
	v_cmp_lt_u32_e64 s[8:9], v7, v1
	v_cmp_nlt_f32_e64 s[12:13], v14, v19
	s_and_b64 s[22:23], s[8:9], s[12:13]
	s_mov_b64 s[8:9], 0
	s_and_saveexec_b64 s[12:13], s[22:23]
	s_cbranch_execz .LBB18_849
; %bb.846:
	v_cmp_nlt_f32_e64 s[8:9], v19, v14
	s_mov_b64 s[22:23], -1
	s_and_saveexec_b64 s[30:31], s[8:9]
; %bb.847:
	v_cmp_nlt_f32_e64 s[8:9], v15, v20
	s_orn2_b64 s[22:23], s[8:9], exec
; %bb.848:
	s_or_b64 exec, exec, s[30:31]
	s_and_b64 s[8:9], s[22:23], exec
.LBB18_849:
	s_or_b64 exec, exec, s[12:13]
	s_orn2_b64 s[22:23], s[8:9], exec
.LBB18_850:
	s_or_b64 exec, exec, s[26:27]
	v_cndmask_b32_e64 v10, v6, v7, s[22:23]
	v_cndmask_b32_e64 v11, v16, v1, s[22:23]
	v_add_u32_e32 v24, 1, v10
	v_add_u32_e32 v10, -1, v11
	v_min_u32_e32 v10, v24, v10
	v_lshl_add_u32 v10, v10, 3, v39
	ds_read_b64 v[10:11], v10
	v_cndmask_b32_e64 v6, v24, v6, s[22:23]
	v_cndmask_b32_e64 v7, v7, v24, s[22:23]
	v_cmp_lt_u32_e64 s[8:9], v6, v16
	s_waitcnt lgkmcnt(0)
	v_cndmask_b32_e64 v21, v10, v14, s[22:23]
	v_cndmask_b32_e64 v26, v11, v15, s[22:23]
	;; [unrolled: 1-line block ×4, first 2 shown]
	s_and_saveexec_b64 s[26:27], s[8:9]
	s_cbranch_execz .LBB18_856
; %bb.851:
	v_cmp_lt_u32_e64 s[8:9], v7, v1
	v_cmp_nlt_f32_e64 s[12:13], v21, v27
	s_and_b64 s[24:25], s[8:9], s[12:13]
	s_mov_b64 s[8:9], 0
	s_and_saveexec_b64 s[12:13], s[24:25]
	s_cbranch_execz .LBB18_855
; %bb.852:
	v_cmp_nlt_f32_e64 s[8:9], v27, v21
	s_mov_b64 s[24:25], -1
	s_and_saveexec_b64 s[30:31], s[8:9]
; %bb.853:
	v_cmp_nlt_f32_e64 s[8:9], v26, v28
	s_orn2_b64 s[24:25], s[8:9], exec
; %bb.854:
	s_or_b64 exec, exec, s[30:31]
	s_and_b64 s[8:9], s[24:25], exec
.LBB18_855:
	s_or_b64 exec, exec, s[12:13]
	s_orn2_b64 s[24:25], s[8:9], exec
.LBB18_856:
	s_or_b64 exec, exec, s[26:27]
	v_cndmask_b32_e64 v10, v6, v7, s[24:25]
	v_cndmask_b32_e64 v11, v16, v1, s[24:25]
	v_add_u32_e32 v49, 1, v10
	v_add_u32_e32 v10, -1, v11
	v_min_u32_e32 v10, v49, v10
	v_lshl_add_u32 v10, v10, 3, v39
	ds_read_b64 v[24:25], v10
	v_cndmask_b32_e64 v6, v49, v6, s[24:25]
	v_cndmask_b32_e64 v7, v7, v49, s[24:25]
	v_cmp_lt_u32_e64 s[8:9], v6, v16
	s_mov_b64 s[30:31], -1
	s_waitcnt lgkmcnt(0)
	v_cndmask_b32_e64 v10, v24, v21, s[24:25]
	v_cndmask_b32_e64 v11, v25, v26, s[24:25]
	;; [unrolled: 1-line block ×4, first 2 shown]
	s_mov_b64 s[26:27], -1
	s_and_saveexec_b64 s[34:35], s[8:9]
	s_cbranch_execz .LBB18_862
; %bb.857:
	v_cmp_lt_u32_e64 s[8:9], v7, v1
	v_cmp_nlt_f32_e64 s[12:13], v10, v29
	s_and_b64 s[26:27], s[8:9], s[12:13]
	s_mov_b64 s[8:9], 0
	s_and_saveexec_b64 s[12:13], s[26:27]
	s_cbranch_execz .LBB18_861
; %bb.858:
	v_cmp_nlt_f32_e64 s[8:9], v29, v10
	s_mov_b64 s[26:27], -1
	s_and_saveexec_b64 s[38:39], s[8:9]
; %bb.859:
	v_cmp_nlt_f32_e64 s[8:9], v11, v48
	s_orn2_b64 s[26:27], s[8:9], exec
; %bb.860:
	s_or_b64 exec, exec, s[38:39]
	s_and_b64 s[8:9], s[26:27], exec
.LBB18_861:
	s_or_b64 exec, exec, s[12:13]
	s_orn2_b64 s[26:27], s[8:9], exec
.LBB18_862:
	s_or_b64 exec, exec, s[34:35]
	v_cndmask_b32_e64 v24, v6, v7, s[26:27]
	v_cndmask_b32_e64 v25, v16, v1, s[26:27]
	v_add_u32_e32 v52, 1, v24
	v_add_u32_e32 v24, -1, v25
	v_min_u32_e32 v24, v52, v24
	v_lshl_add_u32 v24, v24, 3, v39
	ds_read_b64 v[50:51], v24
	v_cndmask_b32_e64 v53, v52, v6, s[26:27]
	v_cndmask_b32_e64 v54, v7, v52, s[26:27]
	v_cmp_lt_u32_e64 s[8:9], v53, v16
	s_waitcnt lgkmcnt(0)
	v_cndmask_b32_e64 v24, v50, v10, s[26:27]
	v_cndmask_b32_e64 v49, v51, v11, s[26:27]
	;; [unrolled: 1-line block ×4, first 2 shown]
	s_and_saveexec_b64 s[34:35], s[8:9]
	s_cbranch_execz .LBB18_868
; %bb.863:
	v_cmp_lt_u32_e64 s[8:9], v54, v1
	v_cmp_nlt_f32_e64 s[12:13], v24, v25
	s_and_b64 s[30:31], s[8:9], s[12:13]
	s_mov_b64 s[8:9], 0
	s_and_saveexec_b64 s[12:13], s[30:31]
	s_cbranch_execz .LBB18_867
; %bb.864:
	v_cmp_nlt_f32_e64 s[8:9], v25, v24
	s_mov_b64 s[30:31], -1
	s_and_saveexec_b64 s[38:39], s[8:9]
; %bb.865:
	v_cmp_nlt_f32_e64 s[8:9], v49, v50
	s_orn2_b64 s[30:31], s[8:9], exec
; %bb.866:
	s_or_b64 exec, exec, s[38:39]
	s_and_b64 s[8:9], s[30:31], exec
.LBB18_867:
	s_or_b64 exec, exec, s[12:13]
	s_orn2_b64 s[30:31], s[8:9], exec
.LBB18_868:
	s_or_b64 exec, exec, s[34:35]
	v_cndmask_b32_e64 v6, v53, v54, s[30:31]
	v_cndmask_b32_e64 v7, v16, v1, s[30:31]
	v_add_u32_e32 v55, 1, v6
	v_add_u32_e32 v6, -1, v7
	v_min_u32_e32 v6, v55, v6
	v_lshl_add_u32 v6, v6, 3, v39
	ds_read_b64 v[64:65], v6
	s_mov_b64 s[34:35], -1
	s_mov_b64 s[38:39], -1
	s_waitcnt lgkmcnt(0)
	v_cndmask_b32_e64 v7, v65, v49, s[30:31]
	v_cndmask_b32_e64 v52, v50, v65, s[30:31]
	;; [unrolled: 1-line block ×6, first 2 shown]
	v_cmp_lt_u32_e64 s[8:9], v65, v16
	s_and_saveexec_b64 s[40:41], s[8:9]
	s_cbranch_execz .LBB18_874
; %bb.869:
	v_cmp_lt_u32_e64 s[8:9], v64, v1
	v_cmp_nlt_f32_e64 s[12:13], v6, v51
	s_and_b64 s[38:39], s[8:9], s[12:13]
	s_mov_b64 s[8:9], 0
	s_and_saveexec_b64 s[12:13], s[38:39]
	s_cbranch_execz .LBB18_873
; %bb.870:
	v_cmp_nlt_f32_e64 s[8:9], v51, v6
	s_mov_b64 s[38:39], -1
	s_and_saveexec_b64 s[42:43], s[8:9]
; %bb.871:
	v_cmp_nlt_f32_e64 s[8:9], v7, v52
	s_orn2_b64 s[38:39], s[8:9], exec
; %bb.872:
	s_or_b64 exec, exec, s[42:43]
	s_and_b64 s[8:9], s[38:39], exec
.LBB18_873:
	s_or_b64 exec, exec, s[12:13]
	s_orn2_b64 s[38:39], s[8:9], exec
.LBB18_874:
	s_or_b64 exec, exec, s[40:41]
	v_cndmask_b32_e64 v53, v65, v64, s[38:39]
	v_cndmask_b32_e64 v54, v16, v1, s[38:39]
	v_add_u32_e32 v66, 1, v53
	v_add_u32_e32 v53, -1, v54
	v_min_u32_e32 v53, v66, v53
	v_lshl_add_u32 v39, v53, 3, v39
	ds_read_b64 v[54:55], v39
	v_cndmask_b32_e64 v65, v66, v65, s[38:39]
	v_cmp_lt_u32_e64 s[8:9], v65, v16
	s_waitcnt lgkmcnt(0)
	v_cndmask_b32_e64 v39, v54, v6, s[38:39]
	v_cndmask_b32_e64 v53, v55, v7, s[38:39]
	;; [unrolled: 1-line block ×4, first 2 shown]
	s_and_saveexec_b64 s[40:41], s[8:9]
	s_cbranch_execz .LBB18_880
; %bb.875:
	v_cndmask_b32_e64 v16, v64, v66, s[38:39]
	v_cmp_lt_u32_e64 s[8:9], v16, v1
	v_cmp_nlt_f32_e64 s[12:13], v39, v54
	s_and_b64 s[34:35], s[8:9], s[12:13]
	s_mov_b64 s[8:9], 0
	s_and_saveexec_b64 s[12:13], s[34:35]
	s_cbranch_execz .LBB18_879
; %bb.876:
	v_cmp_nlt_f32_e64 s[8:9], v54, v39
	s_mov_b64 s[34:35], -1
	s_and_saveexec_b64 s[42:43], s[8:9]
; %bb.877:
	v_cmp_nlt_f32_e64 s[8:9], v53, v55
	s_orn2_b64 s[34:35], s[8:9], exec
; %bb.878:
	s_or_b64 exec, exec, s[42:43]
	s_and_b64 s[8:9], s[34:35], exec
.LBB18_879:
	s_or_b64 exec, exec, s[12:13]
	s_orn2_b64 s[34:35], s[8:9], exec
.LBB18_880:
	s_or_b64 exec, exec, s[40:41]
	v_cndmask_b32_e64 v7, v7, v52, s[38:39]
	v_cndmask_b32_e64 v6, v6, v51, s[38:39]
	;; [unrolled: 1-line block ×16, first 2 shown]
.LBB18_881:
	s_or_b64 exec, exec, s[16:17]
	s_movk_i32 s48, 0x80
	v_cmp_lt_u32_e64 s[8:9], s48, v0
	v_lshlrev_b32_e32 v1, 6, v32
	; wave barrier
	s_waitcnt lgkmcnt(0)
	s_barrier
	s_and_saveexec_b64 s[16:17], s[8:9]
	s_cbranch_execz .LBB18_947
; %bb.882:
	s_mov_b64 s[18:19], 0
	s_branch .LBB18_887
.LBB18_883:                             ;   in Loop: Header=BB18_887 Depth=1
	s_or_b64 exec, exec, s[46:47]
	s_and_b64 s[8:9], s[44:45], exec
.LBB18_884:                             ;   in Loop: Header=BB18_887 Depth=1
	s_or_b64 exec, exec, s[12:13]
	s_orn2_b64 s[12:13], s[8:9], exec
.LBB18_885:                             ;   in Loop: Header=BB18_887 Depth=1
	s_or_b64 exec, exec, s[42:43]
	v_cndmask_b32_e64 v7, v7, v51, s[40:41]
	v_cndmask_b32_e64 v6, v6, v50, s[40:41]
	;; [unrolled: 1-line block ×16, first 2 shown]
.LBB18_886:                             ;   in Loop: Header=BB18_887 Depth=1
	s_or_b64 exec, exec, s[20:21]
	v_cmp_ge_u32_e64 s[8:9], s48, v0
	s_or_b64 s[18:19], s[8:9], s[18:19]
	s_barrier
	s_andn2_b64 exec, exec, s[18:19]
	s_cbranch_execz .LBB18_946
.LBB18_887:                             ; =>This Loop Header: Depth=1
                                        ;     Child Loop BB18_891 Depth 2
	s_mov_b32 s8, s48
	v_mov_b32_e32 v16, v3
	v_mov_b32_e32 v17, v2
	;; [unrolled: 1-line block ×4, first 2 shown]
	s_lshl_b32 s48, s48, 1
	ds_write_b128 v1, v[16:19]
	v_mov_b32_e32 v16, v27
	v_mov_b32_e32 v17, v26
	;; [unrolled: 1-line block ×4, first 2 shown]
	s_sub_i32 s12, 0, s48
	ds_write_b128 v1, v[14:17] offset:16
	ds_write_b128 v1, v[10:13] offset:32
	;; [unrolled: 1-line block ×3, first 2 shown]
	v_and_b32_e32 v12, s12, v22
	v_add_u32_e32 v13, s8, v12
	v_min_u32_e32 v16, v13, v0
	s_add_i32 s9, s48, -1
	v_add_u32_e32 v13, s8, v16
	v_min_u32_e32 v17, v13, v0
	v_and_b32_e32 v13, s9, v22
	v_min_u32_e32 v13, v13, v0
	v_sub_u32_e32 v20, v16, v12
	v_sub_u32_e32 v19, v17, v16
	v_sub_u32_e64 v19, v13, v19 clamp
	v_min_u32_e32 v20, v13, v20
	v_lshlrev_b32_e32 v18, 3, v12
	v_cmp_lt_u32_e64 s[8:9], v19, v20
	s_waitcnt lgkmcnt(0)
	s_barrier
	s_and_saveexec_b64 s[12:13], s[8:9]
	s_cbranch_execz .LBB18_895
; %bb.888:                              ;   in Loop: Header=BB18_887 Depth=1
	v_lshlrev_b32_e32 v21, 3, v13
	v_lshl_add_u32 v21, v16, 3, v21
	s_mov_b64 s[20:21], 0
                                        ; implicit-def: $sgpr22_sgpr23
	s_branch .LBB18_891
.LBB18_889:                             ;   in Loop: Header=BB18_891 Depth=2
	s_or_b64 exec, exec, s[30:31]
	s_andn2_b64 s[8:9], s[22:23], exec
	s_and_b64 s[22:23], s[26:27], exec
	s_or_b64 s[22:23], s[8:9], s[22:23]
.LBB18_890:                             ;   in Loop: Header=BB18_891 Depth=2
	s_or_b64 exec, exec, s[24:25]
	v_add_u32_e32 v39, 1, v32
	v_cndmask_b32_e64 v20, v20, v32, s[22:23]
	v_cndmask_b32_e64 v19, v39, v19, s[22:23]
	v_cmp_ge_u32_e64 s[8:9], v19, v20
	s_or_b64 s[20:21], s[8:9], s[20:21]
	s_andn2_b64 exec, exec, s[20:21]
	s_cbranch_execz .LBB18_894
.LBB18_891:                             ;   Parent Loop BB18_887 Depth=1
                                        ; =>  This Inner Loop Header: Depth=2
	v_add_u32_e32 v32, v20, v19
	v_lshrrev_b32_e32 v32, 1, v32
	v_not_b32_e32 v48, v32
	v_lshl_add_u32 v39, v32, 3, v18
	v_lshl_add_u32 v48, v48, 3, v21
	ds_read_b32 v49, v39
	ds_read_b32 v50, v48
	s_or_b64 s[22:23], s[22:23], exec
	s_waitcnt lgkmcnt(0)
	v_cmp_nlt_f32_e64 s[8:9], v50, v49
	s_and_saveexec_b64 s[24:25], s[8:9]
	s_cbranch_execz .LBB18_890
; %bb.892:                              ;   in Loop: Header=BB18_891 Depth=2
	v_cmp_nlt_f32_e64 s[8:9], v49, v50
	s_mov_b64 s[26:27], 0
	s_and_saveexec_b64 s[30:31], s[8:9]
	s_cbranch_execz .LBB18_889
; %bb.893:                              ;   in Loop: Header=BB18_891 Depth=2
	ds_read_b32 v48, v48 offset:4
	ds_read_b32 v39, v39 offset:4
	s_waitcnt lgkmcnt(0)
	v_cmp_lt_f32_e64 s[8:9], v48, v39
	s_and_b64 s[26:27], s[8:9], exec
	s_branch .LBB18_889
.LBB18_894:                             ;   in Loop: Header=BB18_887 Depth=1
	s_or_b64 exec, exec, s[20:21]
.LBB18_895:                             ;   in Loop: Header=BB18_887 Depth=1
	s_or_b64 exec, exec, s[12:13]
	v_sub_u32_e32 v13, v13, v19
	v_add_u32_e32 v20, v19, v12
	v_add_u32_e32 v21, v13, v16
	v_cmp_le_u32_e64 s[8:9], v20, v16
	v_cmp_le_u32_e64 s[12:13], v21, v17
	s_or_b64 s[8:9], s[8:9], s[12:13]
	s_and_saveexec_b64 s[20:21], s[8:9]
	s_cbranch_execz .LBB18_886
; %bb.896:                              ;   in Loop: Header=BB18_887 Depth=1
	v_cmp_ge_u32_e64 s[8:9], v20, v16
	v_cmp_lt_u32_e64 s[12:13], v20, v16
	v_mov_b32_e32 v8, 0
	v_mov_b32_e32 v12, 0
	;; [unrolled: 1-line block ×3, first 2 shown]
	s_and_saveexec_b64 s[22:23], s[12:13]
	s_cbranch_execz .LBB18_898
; %bb.897:                              ;   in Loop: Header=BB18_887 Depth=1
	v_lshl_add_u32 v2, v19, 3, v18
	ds_read_b64 v[12:13], v2
.LBB18_898:                             ;   in Loop: Header=BB18_887 Depth=1
	s_or_b64 exec, exec, s[22:23]
	v_cmp_ge_u32_e64 s[22:23], v21, v17
	v_cmp_lt_u32_e64 s[12:13], v21, v17
	v_mov_b32_e32 v9, 0
	s_and_saveexec_b64 s[24:25], s[12:13]
	s_cbranch_execz .LBB18_900
; %bb.899:                              ;   in Loop: Header=BB18_887 Depth=1
	v_lshlrev_b32_e32 v2, 3, v21
	ds_read_b64 v[8:9], v2
.LBB18_900:                             ;   in Loop: Header=BB18_887 Depth=1
	s_or_b64 exec, exec, s[24:25]
	s_or_b64 s[8:9], s[8:9], s[22:23]
	s_xor_b64 s[8:9], s[8:9], -1
	s_and_saveexec_b64 s[12:13], s[8:9]
	s_cbranch_execz .LBB18_906
; %bb.901:                              ;   in Loop: Header=BB18_887 Depth=1
	s_waitcnt lgkmcnt(0)
	v_cmp_nlt_f32_e64 s[8:9], v8, v12
	s_mov_b64 s[26:27], 0
	s_and_saveexec_b64 s[24:25], s[8:9]
	s_cbranch_execz .LBB18_905
; %bb.902:                              ;   in Loop: Header=BB18_887 Depth=1
	v_cmp_nlt_f32_e64 s[8:9], v12, v8
	s_mov_b64 s[26:27], -1
	s_and_saveexec_b64 s[30:31], s[8:9]
; %bb.903:                              ;   in Loop: Header=BB18_887 Depth=1
	v_cmp_nlt_f32_e64 s[8:9], v9, v13
	s_orn2_b64 s[26:27], s[8:9], exec
; %bb.904:                              ;   in Loop: Header=BB18_887 Depth=1
	s_or_b64 exec, exec, s[30:31]
	s_and_b64 s[26:27], s[26:27], exec
.LBB18_905:                             ;   in Loop: Header=BB18_887 Depth=1
	s_or_b64 exec, exec, s[24:25]
	s_andn2_b64 s[8:9], s[22:23], exec
	s_and_b64 s[22:23], s[26:27], exec
	s_or_b64 s[22:23], s[8:9], s[22:23]
.LBB18_906:                             ;   in Loop: Header=BB18_887 Depth=1
	s_or_b64 exec, exec, s[12:13]
	v_cndmask_b32_e64 v2, v21, v20, s[22:23]
	v_cndmask_b32_e64 v3, v17, v16, s[22:23]
	v_add_u32_e32 v10, 1, v2
	v_add_u32_e32 v2, -1, v3
	v_min_u32_e32 v2, v10, v2
	v_lshlrev_b32_e32 v2, 3, v2
	ds_read_b64 v[6:7], v2
	s_mov_b64 s[26:27], -1
	s_mov_b64 s[24:25], -1
	s_waitcnt lgkmcnt(0)
	v_cndmask_b32_e64 v2, v6, v8, s[22:23]
	v_cndmask_b32_e64 v18, v12, v6, s[22:23]
	;; [unrolled: 1-line block ×6, first 2 shown]
	v_cmp_lt_u32_e64 s[8:9], v6, v17
	s_and_saveexec_b64 s[30:31], s[8:9]
	s_cbranch_execz .LBB18_912
; %bb.907:                              ;   in Loop: Header=BB18_887 Depth=1
	v_cmp_lt_u32_e64 s[8:9], v7, v16
	v_cmp_nlt_f32_e64 s[12:13], v2, v18
	s_and_b64 s[24:25], s[8:9], s[12:13]
	s_mov_b64 s[8:9], 0
	s_and_saveexec_b64 s[12:13], s[24:25]
	s_cbranch_execz .LBB18_911
; %bb.908:                              ;   in Loop: Header=BB18_887 Depth=1
	v_cmp_nlt_f32_e64 s[8:9], v18, v2
	s_mov_b64 s[24:25], -1
	s_and_saveexec_b64 s[34:35], s[8:9]
; %bb.909:                              ;   in Loop: Header=BB18_887 Depth=1
	v_cmp_nlt_f32_e64 s[8:9], v3, v19
	s_orn2_b64 s[24:25], s[8:9], exec
; %bb.910:                              ;   in Loop: Header=BB18_887 Depth=1
	s_or_b64 exec, exec, s[34:35]
	s_and_b64 s[8:9], s[24:25], exec
.LBB18_911:                             ;   in Loop: Header=BB18_887 Depth=1
	s_or_b64 exec, exec, s[12:13]
	s_orn2_b64 s[24:25], s[8:9], exec
.LBB18_912:                             ;   in Loop: Header=BB18_887 Depth=1
	s_or_b64 exec, exec, s[30:31]
	v_cndmask_b32_e64 v10, v6, v7, s[24:25]
	v_cndmask_b32_e64 v11, v17, v16, s[24:25]
	v_add_u32_e32 v24, 1, v10
	v_add_u32_e32 v10, -1, v11
	v_min_u32_e32 v10, v24, v10
	v_lshlrev_b32_e32 v10, 3, v10
	ds_read_b64 v[10:11], v10
	v_cndmask_b32_e64 v6, v24, v6, s[24:25]
	v_cndmask_b32_e64 v7, v7, v24, s[24:25]
	v_cmp_lt_u32_e64 s[8:9], v6, v17
	s_waitcnt lgkmcnt(0)
	v_cndmask_b32_e64 v14, v10, v2, s[24:25]
	v_cndmask_b32_e64 v15, v11, v3, s[24:25]
	;; [unrolled: 1-line block ×4, first 2 shown]
	s_and_saveexec_b64 s[30:31], s[8:9]
	s_cbranch_execz .LBB18_918
; %bb.913:                              ;   in Loop: Header=BB18_887 Depth=1
	v_cmp_lt_u32_e64 s[8:9], v7, v16
	v_cmp_nlt_f32_e64 s[12:13], v14, v20
	s_and_b64 s[26:27], s[8:9], s[12:13]
	s_mov_b64 s[8:9], 0
	s_and_saveexec_b64 s[12:13], s[26:27]
	s_cbranch_execz .LBB18_917
; %bb.914:                              ;   in Loop: Header=BB18_887 Depth=1
	v_cmp_nlt_f32_e64 s[8:9], v20, v14
	s_mov_b64 s[26:27], -1
	s_and_saveexec_b64 s[34:35], s[8:9]
; %bb.915:                              ;   in Loop: Header=BB18_887 Depth=1
	v_cmp_nlt_f32_e64 s[8:9], v15, v21
	s_orn2_b64 s[26:27], s[8:9], exec
; %bb.916:                              ;   in Loop: Header=BB18_887 Depth=1
	s_or_b64 exec, exec, s[34:35]
	s_and_b64 s[8:9], s[26:27], exec
.LBB18_917:                             ;   in Loop: Header=BB18_887 Depth=1
	s_or_b64 exec, exec, s[12:13]
	s_orn2_b64 s[26:27], s[8:9], exec
.LBB18_918:                             ;   in Loop: Header=BB18_887 Depth=1
	s_or_b64 exec, exec, s[30:31]
	v_cndmask_b32_e64 v10, v6, v7, s[26:27]
	v_cndmask_b32_e64 v11, v17, v16, s[26:27]
	v_add_u32_e32 v24, 1, v10
	v_add_u32_e32 v10, -1, v11
	v_min_u32_e32 v10, v24, v10
	v_lshlrev_b32_e32 v10, 3, v10
	ds_read_b64 v[10:11], v10
	v_cndmask_b32_e64 v6, v24, v6, s[26:27]
	v_cndmask_b32_e64 v7, v7, v24, s[26:27]
	v_cmp_lt_u32_e64 s[8:9], v6, v17
	s_mov_b64 s[34:35], -1
	s_waitcnt lgkmcnt(0)
	v_cndmask_b32_e64 v26, v10, v14, s[26:27]
	v_cndmask_b32_e64 v28, v11, v15, s[26:27]
	;; [unrolled: 1-line block ×4, first 2 shown]
	s_mov_b64 s[30:31], -1
	s_and_saveexec_b64 s[38:39], s[8:9]
	s_cbranch_execz .LBB18_924
; %bb.919:                              ;   in Loop: Header=BB18_887 Depth=1
	v_cmp_lt_u32_e64 s[8:9], v7, v16
	v_cmp_nlt_f32_e64 s[12:13], v26, v27
	s_and_b64 s[30:31], s[8:9], s[12:13]
	s_mov_b64 s[8:9], 0
	s_and_saveexec_b64 s[12:13], s[30:31]
	s_cbranch_execz .LBB18_923
; %bb.920:                              ;   in Loop: Header=BB18_887 Depth=1
	v_cmp_nlt_f32_e64 s[8:9], v27, v26
	s_mov_b64 s[30:31], -1
	s_and_saveexec_b64 s[40:41], s[8:9]
; %bb.921:                              ;   in Loop: Header=BB18_887 Depth=1
	v_cmp_nlt_f32_e64 s[8:9], v28, v29
	s_orn2_b64 s[30:31], s[8:9], exec
; %bb.922:                              ;   in Loop: Header=BB18_887 Depth=1
	s_or_b64 exec, exec, s[40:41]
	s_and_b64 s[8:9], s[30:31], exec
.LBB18_923:                             ;   in Loop: Header=BB18_887 Depth=1
	s_or_b64 exec, exec, s[12:13]
	s_orn2_b64 s[30:31], s[8:9], exec
.LBB18_924:                             ;   in Loop: Header=BB18_887 Depth=1
	s_or_b64 exec, exec, s[38:39]
	v_cndmask_b32_e64 v10, v6, v7, s[30:31]
	v_cndmask_b32_e64 v11, v17, v16, s[30:31]
	v_add_u32_e32 v48, 1, v10
	v_add_u32_e32 v10, -1, v11
	v_min_u32_e32 v10, v48, v10
	v_lshlrev_b32_e32 v10, 3, v10
	ds_read_b64 v[24:25], v10
	v_cndmask_b32_e64 v6, v48, v6, s[30:31]
	v_cndmask_b32_e64 v7, v7, v48, s[30:31]
	v_cmp_lt_u32_e64 s[8:9], v6, v17
	s_waitcnt lgkmcnt(0)
	v_cndmask_b32_e64 v10, v24, v26, s[30:31]
	v_cndmask_b32_e64 v11, v25, v28, s[30:31]
	;; [unrolled: 1-line block ×4, first 2 shown]
	s_and_saveexec_b64 s[38:39], s[8:9]
	s_cbranch_execz .LBB18_930
; %bb.925:                              ;   in Loop: Header=BB18_887 Depth=1
	v_cmp_lt_u32_e64 s[8:9], v7, v16
	v_cmp_nlt_f32_e64 s[12:13], v10, v32
	s_and_b64 s[34:35], s[8:9], s[12:13]
	s_mov_b64 s[8:9], 0
	s_and_saveexec_b64 s[12:13], s[34:35]
	s_cbranch_execz .LBB18_929
; %bb.926:                              ;   in Loop: Header=BB18_887 Depth=1
	v_cmp_nlt_f32_e64 s[8:9], v32, v10
	s_mov_b64 s[34:35], -1
	s_and_saveexec_b64 s[40:41], s[8:9]
; %bb.927:                              ;   in Loop: Header=BB18_887 Depth=1
	v_cmp_nlt_f32_e64 s[8:9], v11, v39
	s_orn2_b64 s[34:35], s[8:9], exec
; %bb.928:                              ;   in Loop: Header=BB18_887 Depth=1
	s_or_b64 exec, exec, s[40:41]
	s_and_b64 s[8:9], s[34:35], exec
.LBB18_929:                             ;   in Loop: Header=BB18_887 Depth=1
	s_or_b64 exec, exec, s[12:13]
	s_orn2_b64 s[34:35], s[8:9], exec
.LBB18_930:                             ;   in Loop: Header=BB18_887 Depth=1
	s_or_b64 exec, exec, s[38:39]
	v_cndmask_b32_e64 v24, v6, v7, s[34:35]
	v_cndmask_b32_e64 v25, v17, v16, s[34:35]
	v_add_u32_e32 v53, 1, v24
	v_add_u32_e32 v24, -1, v25
	v_min_u32_e32 v24, v53, v24
	v_lshlrev_b32_e32 v24, 3, v24
	ds_read_b64 v[50:51], v24
	v_cndmask_b32_e64 v52, v53, v6, s[34:35]
	v_cndmask_b32_e64 v53, v7, v53, s[34:35]
	v_cmp_lt_u32_e64 s[8:9], v52, v17
	s_mov_b64 s[40:41], -1
	s_waitcnt lgkmcnt(0)
	v_cndmask_b32_e64 v24, v50, v10, s[34:35]
	v_cndmask_b32_e64 v48, v51, v11, s[34:35]
	;; [unrolled: 1-line block ×4, first 2 shown]
	s_mov_b64 s[38:39], -1
	s_and_saveexec_b64 s[42:43], s[8:9]
	s_cbranch_execz .LBB18_936
; %bb.931:                              ;   in Loop: Header=BB18_887 Depth=1
	v_cmp_lt_u32_e64 s[8:9], v53, v16
	v_cmp_nlt_f32_e64 s[12:13], v24, v25
	s_and_b64 s[38:39], s[8:9], s[12:13]
	s_mov_b64 s[8:9], 0
	s_and_saveexec_b64 s[12:13], s[38:39]
	s_cbranch_execz .LBB18_935
; %bb.932:                              ;   in Loop: Header=BB18_887 Depth=1
	v_cmp_nlt_f32_e64 s[8:9], v25, v24
	s_mov_b64 s[38:39], -1
	s_and_saveexec_b64 s[44:45], s[8:9]
; %bb.933:                              ;   in Loop: Header=BB18_887 Depth=1
	v_cmp_nlt_f32_e64 s[8:9], v48, v49
	s_orn2_b64 s[38:39], s[8:9], exec
; %bb.934:                              ;   in Loop: Header=BB18_887 Depth=1
	s_or_b64 exec, exec, s[44:45]
	s_and_b64 s[8:9], s[38:39], exec
.LBB18_935:                             ;   in Loop: Header=BB18_887 Depth=1
	s_or_b64 exec, exec, s[12:13]
	s_orn2_b64 s[38:39], s[8:9], exec
.LBB18_936:                             ;   in Loop: Header=BB18_887 Depth=1
	s_or_b64 exec, exec, s[42:43]
	v_cndmask_b32_e64 v6, v52, v53, s[38:39]
	v_cndmask_b32_e64 v7, v17, v16, s[38:39]
	v_add_u32_e32 v54, 1, v6
	v_add_u32_e32 v6, -1, v7
	v_min_u32_e32 v6, v54, v6
	v_lshlrev_b32_e32 v6, 3, v6
	ds_read_b64 v[50:51], v6
	v_cndmask_b32_e64 v65, v54, v52, s[38:39]
	v_cndmask_b32_e64 v64, v53, v54, s[38:39]
	v_cmp_lt_u32_e64 s[8:9], v65, v17
	s_waitcnt lgkmcnt(0)
	v_cndmask_b32_e64 v6, v50, v24, s[38:39]
	v_cndmask_b32_e64 v7, v51, v48, s[38:39]
	;; [unrolled: 1-line block ×4, first 2 shown]
	s_and_saveexec_b64 s[42:43], s[8:9]
	s_cbranch_execz .LBB18_942
; %bb.937:                              ;   in Loop: Header=BB18_887 Depth=1
	v_cmp_lt_u32_e64 s[8:9], v64, v16
	v_cmp_nlt_f32_e64 s[12:13], v6, v50
	s_and_b64 s[40:41], s[8:9], s[12:13]
	s_mov_b64 s[8:9], 0
	s_and_saveexec_b64 s[12:13], s[40:41]
	s_cbranch_execz .LBB18_941
; %bb.938:                              ;   in Loop: Header=BB18_887 Depth=1
	v_cmp_nlt_f32_e64 s[8:9], v50, v6
	s_mov_b64 s[40:41], -1
	s_and_saveexec_b64 s[44:45], s[8:9]
; %bb.939:                              ;   in Loop: Header=BB18_887 Depth=1
	v_cmp_nlt_f32_e64 s[8:9], v7, v51
	s_orn2_b64 s[40:41], s[8:9], exec
; %bb.940:                              ;   in Loop: Header=BB18_887 Depth=1
	s_or_b64 exec, exec, s[44:45]
	s_and_b64 s[8:9], s[40:41], exec
.LBB18_941:                             ;   in Loop: Header=BB18_887 Depth=1
	s_or_b64 exec, exec, s[12:13]
	s_orn2_b64 s[40:41], s[8:9], exec
.LBB18_942:                             ;   in Loop: Header=BB18_887 Depth=1
	s_or_b64 exec, exec, s[42:43]
	v_cndmask_b32_e64 v52, v65, v64, s[40:41]
	v_cndmask_b32_e64 v53, v17, v16, s[40:41]
	v_add_u32_e32 v66, 1, v52
	v_add_u32_e32 v52, -1, v53
	v_min_u32_e32 v52, v66, v52
	v_lshlrev_b32_e32 v52, 3, v52
	ds_read_b64 v[54:55], v52
	v_cndmask_b32_e64 v65, v66, v65, s[40:41]
	v_cmp_lt_u32_e64 s[8:9], v65, v17
	s_mov_b64 s[12:13], -1
	s_waitcnt lgkmcnt(0)
	v_cndmask_b32_e64 v52, v54, v6, s[40:41]
	v_cndmask_b32_e64 v53, v55, v7, s[40:41]
	;; [unrolled: 1-line block ×4, first 2 shown]
	s_and_saveexec_b64 s[42:43], s[8:9]
	s_cbranch_execz .LBB18_885
; %bb.943:                              ;   in Loop: Header=BB18_887 Depth=1
	v_cndmask_b32_e64 v17, v64, v66, s[40:41]
	v_cmp_lt_u32_e64 s[8:9], v17, v16
	v_cmp_nlt_f32_e64 s[12:13], v52, v54
	s_and_b64 s[44:45], s[8:9], s[12:13]
	s_mov_b64 s[8:9], 0
	s_and_saveexec_b64 s[12:13], s[44:45]
	s_cbranch_execz .LBB18_884
; %bb.944:                              ;   in Loop: Header=BB18_887 Depth=1
	v_cmp_nlt_f32_e64 s[8:9], v54, v52
	s_mov_b64 s[44:45], -1
	s_and_saveexec_b64 s[46:47], s[8:9]
	s_cbranch_execz .LBB18_883
; %bb.945:                              ;   in Loop: Header=BB18_887 Depth=1
	v_cmp_nlt_f32_e64 s[8:9], v53, v55
	s_orn2_b64 s[44:45], s[8:9], exec
	s_branch .LBB18_883
.LBB18_946:
	s_or_b64 exec, exec, s[18:19]
.LBB18_947:
	s_or_b64 exec, exec, s[16:17]
	v_lshl_add_u32 v12, v30, 3, v1
	v_mov_b32_e32 v0, v3
	v_mov_b32_e32 v1, v2
	;; [unrolled: 1-line block ×4, first 2 shown]
	s_barrier
	ds_write2_b64 v12, v[0:1], v[2:3] offset1:1
	v_mov_b32_e32 v0, v27
	v_mov_b32_e32 v1, v26
	ds_write2_b64 v12, v[14:15], v[0:1] offset0:2 offset1:3
	v_mov_b32_e32 v0, v25
	v_mov_b32_e32 v1, v24
	ds_write2_b64 v12, v[10:11], v[0:1] offset0:4 offset1:5
	ds_write2_b64 v12, v[6:7], v[8:9] offset0:6 offset1:7
	s_waitcnt lgkmcnt(0)
	s_barrier
	ds_read_b64 v[16:17], v23 offset:2048
	ds_read_b64 v[14:15], v33 offset:4096
	;; [unrolled: 1-line block ×7, first 2 shown]
	v_mov_b32_e32 v23, 0
	v_lshl_add_u64 v[2:3], v[4:5], 0, v[22:23]
	s_and_saveexec_b64 s[8:9], vcc
	s_cbranch_execnz .LBB18_958
; %bb.948:
	s_or_b64 exec, exec, s[8:9]
	s_and_saveexec_b64 s[8:9], s[0:1]
	s_cbranch_execnz .LBB18_959
.LBB18_949:
	s_or_b64 exec, exec, s[8:9]
	s_and_saveexec_b64 s[0:1], s[2:3]
	s_cbranch_execnz .LBB18_960
.LBB18_950:
	s_or_b64 exec, exec, s[0:1]
	s_and_saveexec_b64 s[0:1], s[4:5]
	s_cbranch_execnz .LBB18_961
.LBB18_951:
	s_or_b64 exec, exec, s[0:1]
	s_and_saveexec_b64 s[0:1], s[6:7]
	s_cbranch_execnz .LBB18_962
.LBB18_952:
	s_or_b64 exec, exec, s[0:1]
	s_and_saveexec_b64 s[0:1], s[10:11]
	s_cbranch_execnz .LBB18_963
.LBB18_953:
	s_or_b64 exec, exec, s[0:1]
	s_and_saveexec_b64 s[0:1], s[28:29]
	s_cbranch_execnz .LBB18_964
.LBB18_954:
	s_or_b64 exec, exec, s[0:1]
	s_and_saveexec_b64 s[0:1], s[14:15]
	s_cbranch_execz .LBB18_956
.LBB18_955:
	v_add_co_u32_e32 v2, vcc, 0x3000, v2
	s_nop 1
	v_addc_co_u32_e32 v3, vcc, 0, v3, vcc
	s_waitcnt lgkmcnt(0)
	flat_store_dwordx2 v[2:3], v[0:1] offset:2048
.LBB18_956:
	s_or_b64 exec, exec, s[0:1]
.LBB18_957:
	s_or_b64 exec, exec, s[36:37]
	v_readlane_b32 s30, v40, 15
	v_readlane_b32 s31, v40, 16
	;; [unrolled: 1-line block ×17, first 2 shown]
	s_or_saveexec_b64 s[0:1], -1
	scratch_load_dword v40, off, s32        ; 4-byte Folded Reload
	s_mov_b64 exec, s[0:1]
	s_waitcnt vmcnt(0) lgkmcnt(0)
	s_setpc_b64 s[30:31]
.LBB18_958:
	ds_read_b64 v[4:5], v31
	s_waitcnt lgkmcnt(0)
	flat_store_dwordx2 v[2:3], v[4:5]
	s_or_b64 exec, exec, s[8:9]
	s_and_saveexec_b64 s[8:9], s[0:1]
	s_cbranch_execz .LBB18_949
.LBB18_959:
	s_waitcnt lgkmcnt(0)
	flat_store_dwordx2 v[2:3], v[16:17] offset:2048
	s_or_b64 exec, exec, s[8:9]
	s_and_saveexec_b64 s[0:1], s[2:3]
	s_cbranch_execz .LBB18_950
.LBB18_960:
	v_add_co_u32_e32 v4, vcc, 0x1000, v2
	s_nop 1
	v_addc_co_u32_e32 v5, vcc, 0, v3, vcc
	s_waitcnt lgkmcnt(0)
	flat_store_dwordx2 v[4:5], v[14:15]
	s_or_b64 exec, exec, s[0:1]
	s_and_saveexec_b64 s[0:1], s[4:5]
	s_cbranch_execz .LBB18_951
.LBB18_961:
	v_add_co_u32_e32 v4, vcc, 0x1000, v2
	s_nop 1
	v_addc_co_u32_e32 v5, vcc, 0, v3, vcc
	s_waitcnt lgkmcnt(0)
	flat_store_dwordx2 v[4:5], v[12:13] offset:2048
	s_or_b64 exec, exec, s[0:1]
	s_and_saveexec_b64 s[0:1], s[6:7]
	s_cbranch_execz .LBB18_952
.LBB18_962:
	v_add_co_u32_e32 v4, vcc, 0x2000, v2
	s_nop 1
	v_addc_co_u32_e32 v5, vcc, 0, v3, vcc
	s_waitcnt lgkmcnt(0)
	flat_store_dwordx2 v[4:5], v[10:11]
	s_or_b64 exec, exec, s[0:1]
	s_and_saveexec_b64 s[0:1], s[10:11]
	s_cbranch_execz .LBB18_953
.LBB18_963:
	v_add_co_u32_e32 v4, vcc, 0x2000, v2
	s_nop 1
	v_addc_co_u32_e32 v5, vcc, 0, v3, vcc
	s_waitcnt lgkmcnt(0)
	flat_store_dwordx2 v[4:5], v[8:9] offset:2048
	s_or_b64 exec, exec, s[0:1]
	s_and_saveexec_b64 s[0:1], s[28:29]
	s_cbranch_execz .LBB18_954
.LBB18_964:
	v_add_co_u32_e32 v4, vcc, 0x3000, v2
	s_nop 1
	v_addc_co_u32_e32 v5, vcc, 0, v3, vcc
	s_waitcnt lgkmcnt(0)
	flat_store_dwordx2 v[4:5], v[6:7]
	s_or_b64 exec, exec, s[0:1]
	s_and_saveexec_b64 s[0:1], s[14:15]
	s_cbranch_execnz .LBB18_955
	s_branch .LBB18_956
.Lfunc_end18:
	.size	_ZN7rocprim17ROCPRIM_400000_NS6detail15block_sort_implIN6thrust23THRUST_200600_302600_NS5tupleIffNS4_9null_typeES6_S6_S6_S6_S6_S6_S6_EENS0_10empty_typeELj256ELj8ELNS0_4arch9wavefront6targetE1EvE4sortINS4_6detail15normal_iteratorINS4_10device_ptrIS7_EEEESI_PS8_SJ_NS4_4lessIS7_EEEEvjbT_T0_T1_T2_T3_RNSC_12storage_typeE, .Lfunc_end18-_ZN7rocprim17ROCPRIM_400000_NS6detail15block_sort_implIN6thrust23THRUST_200600_302600_NS5tupleIffNS4_9null_typeES6_S6_S6_S6_S6_S6_S6_EENS0_10empty_typeELj256ELj8ELNS0_4arch9wavefront6targetE1EvE4sortINS4_6detail15normal_iteratorINS4_10device_ptrIS7_EEEESI_PS8_SJ_NS4_4lessIS7_EEEEvjbT_T0_T1_T2_T3_RNSC_12storage_typeE
                                        ; -- End function
	.section	.AMDGPU.csdata,"",@progbits
; Function info:
; codeLenInByte = 32888
; NumSgprs: 55
; NumVgprs: 72
; NumAgprs: 0
; TotalNumVgprs: 72
; ScratchSize: 8
; MemoryBound: 0
	.section	.text._ZN7rocprim17ROCPRIM_400000_NS6detail17trampoline_kernelINS0_14default_configENS1_37merge_sort_block_sort_config_selectorIN6thrust23THRUST_200600_302600_NS5tupleIffNS6_9null_typeES8_S8_S8_S8_S8_S8_S8_EENS0_10empty_typeEEEZNS1_21merge_sort_block_sortIS3_NS6_6detail15normal_iteratorINS6_10device_ptrIS9_EEEESH_PSA_SI_NS6_4lessIS9_EEEE10hipError_tT0_T1_T2_T3_mRjT4_P12ihipStream_tbNS1_7vsmem_tEEUlT_E_NS1_11comp_targetILNS1_3genE5ELNS1_11target_archE942ELNS1_3gpuE9ELNS1_3repE0EEENS1_30default_config_static_selectorELNS0_4arch9wavefront6targetE1EEEvSN_,"axG",@progbits,_ZN7rocprim17ROCPRIM_400000_NS6detail17trampoline_kernelINS0_14default_configENS1_37merge_sort_block_sort_config_selectorIN6thrust23THRUST_200600_302600_NS5tupleIffNS6_9null_typeES8_S8_S8_S8_S8_S8_S8_EENS0_10empty_typeEEEZNS1_21merge_sort_block_sortIS3_NS6_6detail15normal_iteratorINS6_10device_ptrIS9_EEEESH_PSA_SI_NS6_4lessIS9_EEEE10hipError_tT0_T1_T2_T3_mRjT4_P12ihipStream_tbNS1_7vsmem_tEEUlT_E_NS1_11comp_targetILNS1_3genE5ELNS1_11target_archE942ELNS1_3gpuE9ELNS1_3repE0EEENS1_30default_config_static_selectorELNS0_4arch9wavefront6targetE1EEEvSN_,comdat
	.protected	_ZN7rocprim17ROCPRIM_400000_NS6detail17trampoline_kernelINS0_14default_configENS1_37merge_sort_block_sort_config_selectorIN6thrust23THRUST_200600_302600_NS5tupleIffNS6_9null_typeES8_S8_S8_S8_S8_S8_S8_EENS0_10empty_typeEEEZNS1_21merge_sort_block_sortIS3_NS6_6detail15normal_iteratorINS6_10device_ptrIS9_EEEESH_PSA_SI_NS6_4lessIS9_EEEE10hipError_tT0_T1_T2_T3_mRjT4_P12ihipStream_tbNS1_7vsmem_tEEUlT_E_NS1_11comp_targetILNS1_3genE5ELNS1_11target_archE942ELNS1_3gpuE9ELNS1_3repE0EEENS1_30default_config_static_selectorELNS0_4arch9wavefront6targetE1EEEvSN_ ; -- Begin function _ZN7rocprim17ROCPRIM_400000_NS6detail17trampoline_kernelINS0_14default_configENS1_37merge_sort_block_sort_config_selectorIN6thrust23THRUST_200600_302600_NS5tupleIffNS6_9null_typeES8_S8_S8_S8_S8_S8_S8_EENS0_10empty_typeEEEZNS1_21merge_sort_block_sortIS3_NS6_6detail15normal_iteratorINS6_10device_ptrIS9_EEEESH_PSA_SI_NS6_4lessIS9_EEEE10hipError_tT0_T1_T2_T3_mRjT4_P12ihipStream_tbNS1_7vsmem_tEEUlT_E_NS1_11comp_targetILNS1_3genE5ELNS1_11target_archE942ELNS1_3gpuE9ELNS1_3repE0EEENS1_30default_config_static_selectorELNS0_4arch9wavefront6targetE1EEEvSN_
	.globl	_ZN7rocprim17ROCPRIM_400000_NS6detail17trampoline_kernelINS0_14default_configENS1_37merge_sort_block_sort_config_selectorIN6thrust23THRUST_200600_302600_NS5tupleIffNS6_9null_typeES8_S8_S8_S8_S8_S8_S8_EENS0_10empty_typeEEEZNS1_21merge_sort_block_sortIS3_NS6_6detail15normal_iteratorINS6_10device_ptrIS9_EEEESH_PSA_SI_NS6_4lessIS9_EEEE10hipError_tT0_T1_T2_T3_mRjT4_P12ihipStream_tbNS1_7vsmem_tEEUlT_E_NS1_11comp_targetILNS1_3genE5ELNS1_11target_archE942ELNS1_3gpuE9ELNS1_3repE0EEENS1_30default_config_static_selectorELNS0_4arch9wavefront6targetE1EEEvSN_
	.p2align	8
	.type	_ZN7rocprim17ROCPRIM_400000_NS6detail17trampoline_kernelINS0_14default_configENS1_37merge_sort_block_sort_config_selectorIN6thrust23THRUST_200600_302600_NS5tupleIffNS6_9null_typeES8_S8_S8_S8_S8_S8_S8_EENS0_10empty_typeEEEZNS1_21merge_sort_block_sortIS3_NS6_6detail15normal_iteratorINS6_10device_ptrIS9_EEEESH_PSA_SI_NS6_4lessIS9_EEEE10hipError_tT0_T1_T2_T3_mRjT4_P12ihipStream_tbNS1_7vsmem_tEEUlT_E_NS1_11comp_targetILNS1_3genE5ELNS1_11target_archE942ELNS1_3gpuE9ELNS1_3repE0EEENS1_30default_config_static_selectorELNS0_4arch9wavefront6targetE1EEEvSN_,@function
_ZN7rocprim17ROCPRIM_400000_NS6detail17trampoline_kernelINS0_14default_configENS1_37merge_sort_block_sort_config_selectorIN6thrust23THRUST_200600_302600_NS5tupleIffNS6_9null_typeES8_S8_S8_S8_S8_S8_S8_EENS0_10empty_typeEEEZNS1_21merge_sort_block_sortIS3_NS6_6detail15normal_iteratorINS6_10device_ptrIS9_EEEESH_PSA_SI_NS6_4lessIS9_EEEE10hipError_tT0_T1_T2_T3_mRjT4_P12ihipStream_tbNS1_7vsmem_tEEUlT_E_NS1_11comp_targetILNS1_3genE5ELNS1_11target_archE942ELNS1_3gpuE9ELNS1_3repE0EEENS1_30default_config_static_selectorELNS0_4arch9wavefront6targetE1EEEvSN_: ; @_ZN7rocprim17ROCPRIM_400000_NS6detail17trampoline_kernelINS0_14default_configENS1_37merge_sort_block_sort_config_selectorIN6thrust23THRUST_200600_302600_NS5tupleIffNS6_9null_typeES8_S8_S8_S8_S8_S8_S8_EENS0_10empty_typeEEEZNS1_21merge_sort_block_sortIS3_NS6_6detail15normal_iteratorINS6_10device_ptrIS9_EEEESH_PSA_SI_NS6_4lessIS9_EEEE10hipError_tT0_T1_T2_T3_mRjT4_P12ihipStream_tbNS1_7vsmem_tEEUlT_E_NS1_11comp_targetILNS1_3genE5ELNS1_11target_archE942ELNS1_3gpuE9ELNS1_3repE0EEENS1_30default_config_static_selectorELNS0_4arch9wavefront6targetE1EEEvSN_
; %bb.0:
	s_load_dwordx2 s[6:7], s[0:1], 0x40
	s_load_dword s5, s[0:1], 0x0
	s_mov_b32 s32, 0
	s_waitcnt lgkmcnt(0)
	s_mul_i32 s4, s7, s4
	s_add_i32 s4, s4, s3
	s_mul_i32 s4, s4, s6
	s_add_i32 s4, s4, s2
	s_cmp_ge_u32 s4, s5
	s_cbranch_scc1 .LBB19_2
; %bb.1:
	s_load_dwordx4 s[8:11], s[0:1], 0x18
	s_load_dwordx2 s[6:7], s[0:1], 0x8
	s_mov_b32 s5, 0
	s_lshl_b64 s[12:13], s[4:5], 14
	v_mov_b32_e32 v31, v0
	s_waitcnt lgkmcnt(0)
	s_add_u32 s10, s10, s12
	s_addc_u32 s11, s11, s13
	s_add_u32 s14, s8, s12
	s_addc_u32 s15, s9, s13
	s_lshr_b64 s[8:9], s[6:7], 11
	s_cmp_eq_u64 s[8:9], s[4:5]
	s_cselect_b64 s[8:9], -1, 0
	s_lshl_b32 s4, s4, 11
	s_sub_i32 s4, s6, s4
	v_cndmask_b32_e64 v1, 0, 1, s[8:9]
	s_add_u32 s8, s0, 64
	s_addc_u32 s9, s1, 0
	s_mov_b32 s12, s2
	s_mov_b32 s13, s3
	v_mov_b32_e32 v0, s4
	v_mov_b32_e32 v2, s14
	;; [unrolled: 1-line block ×5, first 2 shown]
	s_getpc_b64 s[0:1]
	s_add_u32 s0, s0, _ZN7rocprim17ROCPRIM_400000_NS6detail15block_sort_implIN6thrust23THRUST_200600_302600_NS5tupleIffNS4_9null_typeES6_S6_S6_S6_S6_S6_S6_EENS0_10empty_typeELj256ELj8ELNS0_4arch9wavefront6targetE1EvE4sortINS4_6detail15normal_iteratorINS4_10device_ptrIS7_EEEESI_PS8_SJ_NS4_4lessIS7_EEEEvjbT_T0_T1_T2_T3_RNSC_12storage_typeE@rel32@lo+4
	s_addc_u32 s1, s1, _ZN7rocprim17ROCPRIM_400000_NS6detail15block_sort_implIN6thrust23THRUST_200600_302600_NS5tupleIffNS4_9null_typeES6_S6_S6_S6_S6_S6_S6_EENS0_10empty_typeELj256ELj8ELNS0_4arch9wavefront6targetE1EvE4sortINS4_6detail15normal_iteratorINS4_10device_ptrIS7_EEEESI_PS8_SJ_NS4_4lessIS7_EEEEvjbT_T0_T1_T2_T3_RNSC_12storage_typeE@rel32@hi+12
	s_swappc_b64 s[30:31], s[0:1]
.LBB19_2:
	s_endpgm
	.section	.rodata,"a",@progbits
	.p2align	6, 0x0
	.amdhsa_kernel _ZN7rocprim17ROCPRIM_400000_NS6detail17trampoline_kernelINS0_14default_configENS1_37merge_sort_block_sort_config_selectorIN6thrust23THRUST_200600_302600_NS5tupleIffNS6_9null_typeES8_S8_S8_S8_S8_S8_S8_EENS0_10empty_typeEEEZNS1_21merge_sort_block_sortIS3_NS6_6detail15normal_iteratorINS6_10device_ptrIS9_EEEESH_PSA_SI_NS6_4lessIS9_EEEE10hipError_tT0_T1_T2_T3_mRjT4_P12ihipStream_tbNS1_7vsmem_tEEUlT_E_NS1_11comp_targetILNS1_3genE5ELNS1_11target_archE942ELNS1_3gpuE9ELNS1_3repE0EEENS1_30default_config_static_selectorELNS0_4arch9wavefront6targetE1EEEvSN_
		.amdhsa_group_segment_fixed_size 16896
		.amdhsa_private_segment_fixed_size 8
		.amdhsa_kernarg_size 320
		.amdhsa_user_sgpr_count 2
		.amdhsa_user_sgpr_dispatch_ptr 0
		.amdhsa_user_sgpr_queue_ptr 0
		.amdhsa_user_sgpr_kernarg_segment_ptr 1
		.amdhsa_user_sgpr_dispatch_id 0
		.amdhsa_user_sgpr_kernarg_preload_length 0
		.amdhsa_user_sgpr_kernarg_preload_offset 0
		.amdhsa_user_sgpr_private_segment_size 0
		.amdhsa_uses_dynamic_stack 0
		.amdhsa_enable_private_segment 1
		.amdhsa_system_sgpr_workgroup_id_x 1
		.amdhsa_system_sgpr_workgroup_id_y 1
		.amdhsa_system_sgpr_workgroup_id_z 1
		.amdhsa_system_sgpr_workgroup_info 0
		.amdhsa_system_vgpr_workitem_id 2
		.amdhsa_next_free_vgpr 72
		.amdhsa_next_free_sgpr 49
		.amdhsa_accum_offset 72
		.amdhsa_reserve_vcc 1
		.amdhsa_float_round_mode_32 0
		.amdhsa_float_round_mode_16_64 0
		.amdhsa_float_denorm_mode_32 3
		.amdhsa_float_denorm_mode_16_64 3
		.amdhsa_dx10_clamp 1
		.amdhsa_ieee_mode 1
		.amdhsa_fp16_overflow 0
		.amdhsa_tg_split 0
		.amdhsa_exception_fp_ieee_invalid_op 0
		.amdhsa_exception_fp_denorm_src 0
		.amdhsa_exception_fp_ieee_div_zero 0
		.amdhsa_exception_fp_ieee_overflow 0
		.amdhsa_exception_fp_ieee_underflow 0
		.amdhsa_exception_fp_ieee_inexact 0
		.amdhsa_exception_int_div_zero 0
	.end_amdhsa_kernel
	.section	.text._ZN7rocprim17ROCPRIM_400000_NS6detail17trampoline_kernelINS0_14default_configENS1_37merge_sort_block_sort_config_selectorIN6thrust23THRUST_200600_302600_NS5tupleIffNS6_9null_typeES8_S8_S8_S8_S8_S8_S8_EENS0_10empty_typeEEEZNS1_21merge_sort_block_sortIS3_NS6_6detail15normal_iteratorINS6_10device_ptrIS9_EEEESH_PSA_SI_NS6_4lessIS9_EEEE10hipError_tT0_T1_T2_T3_mRjT4_P12ihipStream_tbNS1_7vsmem_tEEUlT_E_NS1_11comp_targetILNS1_3genE5ELNS1_11target_archE942ELNS1_3gpuE9ELNS1_3repE0EEENS1_30default_config_static_selectorELNS0_4arch9wavefront6targetE1EEEvSN_,"axG",@progbits,_ZN7rocprim17ROCPRIM_400000_NS6detail17trampoline_kernelINS0_14default_configENS1_37merge_sort_block_sort_config_selectorIN6thrust23THRUST_200600_302600_NS5tupleIffNS6_9null_typeES8_S8_S8_S8_S8_S8_S8_EENS0_10empty_typeEEEZNS1_21merge_sort_block_sortIS3_NS6_6detail15normal_iteratorINS6_10device_ptrIS9_EEEESH_PSA_SI_NS6_4lessIS9_EEEE10hipError_tT0_T1_T2_T3_mRjT4_P12ihipStream_tbNS1_7vsmem_tEEUlT_E_NS1_11comp_targetILNS1_3genE5ELNS1_11target_archE942ELNS1_3gpuE9ELNS1_3repE0EEENS1_30default_config_static_selectorELNS0_4arch9wavefront6targetE1EEEvSN_,comdat
.Lfunc_end19:
	.size	_ZN7rocprim17ROCPRIM_400000_NS6detail17trampoline_kernelINS0_14default_configENS1_37merge_sort_block_sort_config_selectorIN6thrust23THRUST_200600_302600_NS5tupleIffNS6_9null_typeES8_S8_S8_S8_S8_S8_S8_EENS0_10empty_typeEEEZNS1_21merge_sort_block_sortIS3_NS6_6detail15normal_iteratorINS6_10device_ptrIS9_EEEESH_PSA_SI_NS6_4lessIS9_EEEE10hipError_tT0_T1_T2_T3_mRjT4_P12ihipStream_tbNS1_7vsmem_tEEUlT_E_NS1_11comp_targetILNS1_3genE5ELNS1_11target_archE942ELNS1_3gpuE9ELNS1_3repE0EEENS1_30default_config_static_selectorELNS0_4arch9wavefront6targetE1EEEvSN_, .Lfunc_end19-_ZN7rocprim17ROCPRIM_400000_NS6detail17trampoline_kernelINS0_14default_configENS1_37merge_sort_block_sort_config_selectorIN6thrust23THRUST_200600_302600_NS5tupleIffNS6_9null_typeES8_S8_S8_S8_S8_S8_S8_EENS0_10empty_typeEEEZNS1_21merge_sort_block_sortIS3_NS6_6detail15normal_iteratorINS6_10device_ptrIS9_EEEESH_PSA_SI_NS6_4lessIS9_EEEE10hipError_tT0_T1_T2_T3_mRjT4_P12ihipStream_tbNS1_7vsmem_tEEUlT_E_NS1_11comp_targetILNS1_3genE5ELNS1_11target_archE942ELNS1_3gpuE9ELNS1_3repE0EEENS1_30default_config_static_selectorELNS0_4arch9wavefront6targetE1EEEvSN_
                                        ; -- End function
	.section	.AMDGPU.csdata,"",@progbits
; Kernel info:
; codeLenInByte = 188
; NumSgprs: 55
; NumVgprs: 72
; NumAgprs: 0
; TotalNumVgprs: 72
; ScratchSize: 8
; MemoryBound: 0
; FloatMode: 240
; IeeeMode: 1
; LDSByteSize: 16896 bytes/workgroup (compile time only)
; SGPRBlocks: 6
; VGPRBlocks: 8
; NumSGPRsForWavesPerEU: 55
; NumVGPRsForWavesPerEU: 72
; AccumOffset: 72
; Occupancy: 3
; WaveLimiterHint : 1
; COMPUTE_PGM_RSRC2:SCRATCH_EN: 1
; COMPUTE_PGM_RSRC2:USER_SGPR: 2
; COMPUTE_PGM_RSRC2:TRAP_HANDLER: 0
; COMPUTE_PGM_RSRC2:TGID_X_EN: 1
; COMPUTE_PGM_RSRC2:TGID_Y_EN: 1
; COMPUTE_PGM_RSRC2:TGID_Z_EN: 1
; COMPUTE_PGM_RSRC2:TIDIG_COMP_CNT: 2
; COMPUTE_PGM_RSRC3_GFX90A:ACCUM_OFFSET: 17
; COMPUTE_PGM_RSRC3_GFX90A:TG_SPLIT: 0
	.section	.text._ZN7rocprim17ROCPRIM_400000_NS6detail17trampoline_kernelINS0_14default_configENS1_37merge_sort_block_sort_config_selectorIN6thrust23THRUST_200600_302600_NS5tupleIffNS6_9null_typeES8_S8_S8_S8_S8_S8_S8_EENS0_10empty_typeEEEZNS1_21merge_sort_block_sortIS3_NS6_6detail15normal_iteratorINS6_10device_ptrIS9_EEEESH_PSA_SI_NS6_4lessIS9_EEEE10hipError_tT0_T1_T2_T3_mRjT4_P12ihipStream_tbNS1_7vsmem_tEEUlT_E_NS1_11comp_targetILNS1_3genE4ELNS1_11target_archE910ELNS1_3gpuE8ELNS1_3repE0EEENS1_30default_config_static_selectorELNS0_4arch9wavefront6targetE1EEEvSN_,"axG",@progbits,_ZN7rocprim17ROCPRIM_400000_NS6detail17trampoline_kernelINS0_14default_configENS1_37merge_sort_block_sort_config_selectorIN6thrust23THRUST_200600_302600_NS5tupleIffNS6_9null_typeES8_S8_S8_S8_S8_S8_S8_EENS0_10empty_typeEEEZNS1_21merge_sort_block_sortIS3_NS6_6detail15normal_iteratorINS6_10device_ptrIS9_EEEESH_PSA_SI_NS6_4lessIS9_EEEE10hipError_tT0_T1_T2_T3_mRjT4_P12ihipStream_tbNS1_7vsmem_tEEUlT_E_NS1_11comp_targetILNS1_3genE4ELNS1_11target_archE910ELNS1_3gpuE8ELNS1_3repE0EEENS1_30default_config_static_selectorELNS0_4arch9wavefront6targetE1EEEvSN_,comdat
	.protected	_ZN7rocprim17ROCPRIM_400000_NS6detail17trampoline_kernelINS0_14default_configENS1_37merge_sort_block_sort_config_selectorIN6thrust23THRUST_200600_302600_NS5tupleIffNS6_9null_typeES8_S8_S8_S8_S8_S8_S8_EENS0_10empty_typeEEEZNS1_21merge_sort_block_sortIS3_NS6_6detail15normal_iteratorINS6_10device_ptrIS9_EEEESH_PSA_SI_NS6_4lessIS9_EEEE10hipError_tT0_T1_T2_T3_mRjT4_P12ihipStream_tbNS1_7vsmem_tEEUlT_E_NS1_11comp_targetILNS1_3genE4ELNS1_11target_archE910ELNS1_3gpuE8ELNS1_3repE0EEENS1_30default_config_static_selectorELNS0_4arch9wavefront6targetE1EEEvSN_ ; -- Begin function _ZN7rocprim17ROCPRIM_400000_NS6detail17trampoline_kernelINS0_14default_configENS1_37merge_sort_block_sort_config_selectorIN6thrust23THRUST_200600_302600_NS5tupleIffNS6_9null_typeES8_S8_S8_S8_S8_S8_S8_EENS0_10empty_typeEEEZNS1_21merge_sort_block_sortIS3_NS6_6detail15normal_iteratorINS6_10device_ptrIS9_EEEESH_PSA_SI_NS6_4lessIS9_EEEE10hipError_tT0_T1_T2_T3_mRjT4_P12ihipStream_tbNS1_7vsmem_tEEUlT_E_NS1_11comp_targetILNS1_3genE4ELNS1_11target_archE910ELNS1_3gpuE8ELNS1_3repE0EEENS1_30default_config_static_selectorELNS0_4arch9wavefront6targetE1EEEvSN_
	.globl	_ZN7rocprim17ROCPRIM_400000_NS6detail17trampoline_kernelINS0_14default_configENS1_37merge_sort_block_sort_config_selectorIN6thrust23THRUST_200600_302600_NS5tupleIffNS6_9null_typeES8_S8_S8_S8_S8_S8_S8_EENS0_10empty_typeEEEZNS1_21merge_sort_block_sortIS3_NS6_6detail15normal_iteratorINS6_10device_ptrIS9_EEEESH_PSA_SI_NS6_4lessIS9_EEEE10hipError_tT0_T1_T2_T3_mRjT4_P12ihipStream_tbNS1_7vsmem_tEEUlT_E_NS1_11comp_targetILNS1_3genE4ELNS1_11target_archE910ELNS1_3gpuE8ELNS1_3repE0EEENS1_30default_config_static_selectorELNS0_4arch9wavefront6targetE1EEEvSN_
	.p2align	8
	.type	_ZN7rocprim17ROCPRIM_400000_NS6detail17trampoline_kernelINS0_14default_configENS1_37merge_sort_block_sort_config_selectorIN6thrust23THRUST_200600_302600_NS5tupleIffNS6_9null_typeES8_S8_S8_S8_S8_S8_S8_EENS0_10empty_typeEEEZNS1_21merge_sort_block_sortIS3_NS6_6detail15normal_iteratorINS6_10device_ptrIS9_EEEESH_PSA_SI_NS6_4lessIS9_EEEE10hipError_tT0_T1_T2_T3_mRjT4_P12ihipStream_tbNS1_7vsmem_tEEUlT_E_NS1_11comp_targetILNS1_3genE4ELNS1_11target_archE910ELNS1_3gpuE8ELNS1_3repE0EEENS1_30default_config_static_selectorELNS0_4arch9wavefront6targetE1EEEvSN_,@function
_ZN7rocprim17ROCPRIM_400000_NS6detail17trampoline_kernelINS0_14default_configENS1_37merge_sort_block_sort_config_selectorIN6thrust23THRUST_200600_302600_NS5tupleIffNS6_9null_typeES8_S8_S8_S8_S8_S8_S8_EENS0_10empty_typeEEEZNS1_21merge_sort_block_sortIS3_NS6_6detail15normal_iteratorINS6_10device_ptrIS9_EEEESH_PSA_SI_NS6_4lessIS9_EEEE10hipError_tT0_T1_T2_T3_mRjT4_P12ihipStream_tbNS1_7vsmem_tEEUlT_E_NS1_11comp_targetILNS1_3genE4ELNS1_11target_archE910ELNS1_3gpuE8ELNS1_3repE0EEENS1_30default_config_static_selectorELNS0_4arch9wavefront6targetE1EEEvSN_: ; @_ZN7rocprim17ROCPRIM_400000_NS6detail17trampoline_kernelINS0_14default_configENS1_37merge_sort_block_sort_config_selectorIN6thrust23THRUST_200600_302600_NS5tupleIffNS6_9null_typeES8_S8_S8_S8_S8_S8_S8_EENS0_10empty_typeEEEZNS1_21merge_sort_block_sortIS3_NS6_6detail15normal_iteratorINS6_10device_ptrIS9_EEEESH_PSA_SI_NS6_4lessIS9_EEEE10hipError_tT0_T1_T2_T3_mRjT4_P12ihipStream_tbNS1_7vsmem_tEEUlT_E_NS1_11comp_targetILNS1_3genE4ELNS1_11target_archE910ELNS1_3gpuE8ELNS1_3repE0EEENS1_30default_config_static_selectorELNS0_4arch9wavefront6targetE1EEEvSN_
; %bb.0:
	.section	.rodata,"a",@progbits
	.p2align	6, 0x0
	.amdhsa_kernel _ZN7rocprim17ROCPRIM_400000_NS6detail17trampoline_kernelINS0_14default_configENS1_37merge_sort_block_sort_config_selectorIN6thrust23THRUST_200600_302600_NS5tupleIffNS6_9null_typeES8_S8_S8_S8_S8_S8_S8_EENS0_10empty_typeEEEZNS1_21merge_sort_block_sortIS3_NS6_6detail15normal_iteratorINS6_10device_ptrIS9_EEEESH_PSA_SI_NS6_4lessIS9_EEEE10hipError_tT0_T1_T2_T3_mRjT4_P12ihipStream_tbNS1_7vsmem_tEEUlT_E_NS1_11comp_targetILNS1_3genE4ELNS1_11target_archE910ELNS1_3gpuE8ELNS1_3repE0EEENS1_30default_config_static_selectorELNS0_4arch9wavefront6targetE1EEEvSN_
		.amdhsa_group_segment_fixed_size 0
		.amdhsa_private_segment_fixed_size 0
		.amdhsa_kernarg_size 64
		.amdhsa_user_sgpr_count 2
		.amdhsa_user_sgpr_dispatch_ptr 0
		.amdhsa_user_sgpr_queue_ptr 0
		.amdhsa_user_sgpr_kernarg_segment_ptr 1
		.amdhsa_user_sgpr_dispatch_id 0
		.amdhsa_user_sgpr_kernarg_preload_length 0
		.amdhsa_user_sgpr_kernarg_preload_offset 0
		.amdhsa_user_sgpr_private_segment_size 0
		.amdhsa_uses_dynamic_stack 0
		.amdhsa_enable_private_segment 0
		.amdhsa_system_sgpr_workgroup_id_x 1
		.amdhsa_system_sgpr_workgroup_id_y 0
		.amdhsa_system_sgpr_workgroup_id_z 0
		.amdhsa_system_sgpr_workgroup_info 0
		.amdhsa_system_vgpr_workitem_id 0
		.amdhsa_next_free_vgpr 1
		.amdhsa_next_free_sgpr 0
		.amdhsa_accum_offset 4
		.amdhsa_reserve_vcc 0
		.amdhsa_float_round_mode_32 0
		.amdhsa_float_round_mode_16_64 0
		.amdhsa_float_denorm_mode_32 3
		.amdhsa_float_denorm_mode_16_64 3
		.amdhsa_dx10_clamp 1
		.amdhsa_ieee_mode 1
		.amdhsa_fp16_overflow 0
		.amdhsa_tg_split 0
		.amdhsa_exception_fp_ieee_invalid_op 0
		.amdhsa_exception_fp_denorm_src 0
		.amdhsa_exception_fp_ieee_div_zero 0
		.amdhsa_exception_fp_ieee_overflow 0
		.amdhsa_exception_fp_ieee_underflow 0
		.amdhsa_exception_fp_ieee_inexact 0
		.amdhsa_exception_int_div_zero 0
	.end_amdhsa_kernel
	.section	.text._ZN7rocprim17ROCPRIM_400000_NS6detail17trampoline_kernelINS0_14default_configENS1_37merge_sort_block_sort_config_selectorIN6thrust23THRUST_200600_302600_NS5tupleIffNS6_9null_typeES8_S8_S8_S8_S8_S8_S8_EENS0_10empty_typeEEEZNS1_21merge_sort_block_sortIS3_NS6_6detail15normal_iteratorINS6_10device_ptrIS9_EEEESH_PSA_SI_NS6_4lessIS9_EEEE10hipError_tT0_T1_T2_T3_mRjT4_P12ihipStream_tbNS1_7vsmem_tEEUlT_E_NS1_11comp_targetILNS1_3genE4ELNS1_11target_archE910ELNS1_3gpuE8ELNS1_3repE0EEENS1_30default_config_static_selectorELNS0_4arch9wavefront6targetE1EEEvSN_,"axG",@progbits,_ZN7rocprim17ROCPRIM_400000_NS6detail17trampoline_kernelINS0_14default_configENS1_37merge_sort_block_sort_config_selectorIN6thrust23THRUST_200600_302600_NS5tupleIffNS6_9null_typeES8_S8_S8_S8_S8_S8_S8_EENS0_10empty_typeEEEZNS1_21merge_sort_block_sortIS3_NS6_6detail15normal_iteratorINS6_10device_ptrIS9_EEEESH_PSA_SI_NS6_4lessIS9_EEEE10hipError_tT0_T1_T2_T3_mRjT4_P12ihipStream_tbNS1_7vsmem_tEEUlT_E_NS1_11comp_targetILNS1_3genE4ELNS1_11target_archE910ELNS1_3gpuE8ELNS1_3repE0EEENS1_30default_config_static_selectorELNS0_4arch9wavefront6targetE1EEEvSN_,comdat
.Lfunc_end20:
	.size	_ZN7rocprim17ROCPRIM_400000_NS6detail17trampoline_kernelINS0_14default_configENS1_37merge_sort_block_sort_config_selectorIN6thrust23THRUST_200600_302600_NS5tupleIffNS6_9null_typeES8_S8_S8_S8_S8_S8_S8_EENS0_10empty_typeEEEZNS1_21merge_sort_block_sortIS3_NS6_6detail15normal_iteratorINS6_10device_ptrIS9_EEEESH_PSA_SI_NS6_4lessIS9_EEEE10hipError_tT0_T1_T2_T3_mRjT4_P12ihipStream_tbNS1_7vsmem_tEEUlT_E_NS1_11comp_targetILNS1_3genE4ELNS1_11target_archE910ELNS1_3gpuE8ELNS1_3repE0EEENS1_30default_config_static_selectorELNS0_4arch9wavefront6targetE1EEEvSN_, .Lfunc_end20-_ZN7rocprim17ROCPRIM_400000_NS6detail17trampoline_kernelINS0_14default_configENS1_37merge_sort_block_sort_config_selectorIN6thrust23THRUST_200600_302600_NS5tupleIffNS6_9null_typeES8_S8_S8_S8_S8_S8_S8_EENS0_10empty_typeEEEZNS1_21merge_sort_block_sortIS3_NS6_6detail15normal_iteratorINS6_10device_ptrIS9_EEEESH_PSA_SI_NS6_4lessIS9_EEEE10hipError_tT0_T1_T2_T3_mRjT4_P12ihipStream_tbNS1_7vsmem_tEEUlT_E_NS1_11comp_targetILNS1_3genE4ELNS1_11target_archE910ELNS1_3gpuE8ELNS1_3repE0EEENS1_30default_config_static_selectorELNS0_4arch9wavefront6targetE1EEEvSN_
                                        ; -- End function
	.section	.AMDGPU.csdata,"",@progbits
; Kernel info:
; codeLenInByte = 0
; NumSgprs: 6
; NumVgprs: 0
; NumAgprs: 0
; TotalNumVgprs: 0
; ScratchSize: 0
; MemoryBound: 0
; FloatMode: 240
; IeeeMode: 1
; LDSByteSize: 0 bytes/workgroup (compile time only)
; SGPRBlocks: 0
; VGPRBlocks: 0
; NumSGPRsForWavesPerEU: 6
; NumVGPRsForWavesPerEU: 1
; AccumOffset: 4
; Occupancy: 8
; WaveLimiterHint : 0
; COMPUTE_PGM_RSRC2:SCRATCH_EN: 0
; COMPUTE_PGM_RSRC2:USER_SGPR: 2
; COMPUTE_PGM_RSRC2:TRAP_HANDLER: 0
; COMPUTE_PGM_RSRC2:TGID_X_EN: 1
; COMPUTE_PGM_RSRC2:TGID_Y_EN: 0
; COMPUTE_PGM_RSRC2:TGID_Z_EN: 0
; COMPUTE_PGM_RSRC2:TIDIG_COMP_CNT: 0
; COMPUTE_PGM_RSRC3_GFX90A:ACCUM_OFFSET: 0
; COMPUTE_PGM_RSRC3_GFX90A:TG_SPLIT: 0
	.section	.text._ZN7rocprim17ROCPRIM_400000_NS6detail17trampoline_kernelINS0_14default_configENS1_37merge_sort_block_sort_config_selectorIN6thrust23THRUST_200600_302600_NS5tupleIffNS6_9null_typeES8_S8_S8_S8_S8_S8_S8_EENS0_10empty_typeEEEZNS1_21merge_sort_block_sortIS3_NS6_6detail15normal_iteratorINS6_10device_ptrIS9_EEEESH_PSA_SI_NS6_4lessIS9_EEEE10hipError_tT0_T1_T2_T3_mRjT4_P12ihipStream_tbNS1_7vsmem_tEEUlT_E_NS1_11comp_targetILNS1_3genE3ELNS1_11target_archE908ELNS1_3gpuE7ELNS1_3repE0EEENS1_30default_config_static_selectorELNS0_4arch9wavefront6targetE1EEEvSN_,"axG",@progbits,_ZN7rocprim17ROCPRIM_400000_NS6detail17trampoline_kernelINS0_14default_configENS1_37merge_sort_block_sort_config_selectorIN6thrust23THRUST_200600_302600_NS5tupleIffNS6_9null_typeES8_S8_S8_S8_S8_S8_S8_EENS0_10empty_typeEEEZNS1_21merge_sort_block_sortIS3_NS6_6detail15normal_iteratorINS6_10device_ptrIS9_EEEESH_PSA_SI_NS6_4lessIS9_EEEE10hipError_tT0_T1_T2_T3_mRjT4_P12ihipStream_tbNS1_7vsmem_tEEUlT_E_NS1_11comp_targetILNS1_3genE3ELNS1_11target_archE908ELNS1_3gpuE7ELNS1_3repE0EEENS1_30default_config_static_selectorELNS0_4arch9wavefront6targetE1EEEvSN_,comdat
	.protected	_ZN7rocprim17ROCPRIM_400000_NS6detail17trampoline_kernelINS0_14default_configENS1_37merge_sort_block_sort_config_selectorIN6thrust23THRUST_200600_302600_NS5tupleIffNS6_9null_typeES8_S8_S8_S8_S8_S8_S8_EENS0_10empty_typeEEEZNS1_21merge_sort_block_sortIS3_NS6_6detail15normal_iteratorINS6_10device_ptrIS9_EEEESH_PSA_SI_NS6_4lessIS9_EEEE10hipError_tT0_T1_T2_T3_mRjT4_P12ihipStream_tbNS1_7vsmem_tEEUlT_E_NS1_11comp_targetILNS1_3genE3ELNS1_11target_archE908ELNS1_3gpuE7ELNS1_3repE0EEENS1_30default_config_static_selectorELNS0_4arch9wavefront6targetE1EEEvSN_ ; -- Begin function _ZN7rocprim17ROCPRIM_400000_NS6detail17trampoline_kernelINS0_14default_configENS1_37merge_sort_block_sort_config_selectorIN6thrust23THRUST_200600_302600_NS5tupleIffNS6_9null_typeES8_S8_S8_S8_S8_S8_S8_EENS0_10empty_typeEEEZNS1_21merge_sort_block_sortIS3_NS6_6detail15normal_iteratorINS6_10device_ptrIS9_EEEESH_PSA_SI_NS6_4lessIS9_EEEE10hipError_tT0_T1_T2_T3_mRjT4_P12ihipStream_tbNS1_7vsmem_tEEUlT_E_NS1_11comp_targetILNS1_3genE3ELNS1_11target_archE908ELNS1_3gpuE7ELNS1_3repE0EEENS1_30default_config_static_selectorELNS0_4arch9wavefront6targetE1EEEvSN_
	.globl	_ZN7rocprim17ROCPRIM_400000_NS6detail17trampoline_kernelINS0_14default_configENS1_37merge_sort_block_sort_config_selectorIN6thrust23THRUST_200600_302600_NS5tupleIffNS6_9null_typeES8_S8_S8_S8_S8_S8_S8_EENS0_10empty_typeEEEZNS1_21merge_sort_block_sortIS3_NS6_6detail15normal_iteratorINS6_10device_ptrIS9_EEEESH_PSA_SI_NS6_4lessIS9_EEEE10hipError_tT0_T1_T2_T3_mRjT4_P12ihipStream_tbNS1_7vsmem_tEEUlT_E_NS1_11comp_targetILNS1_3genE3ELNS1_11target_archE908ELNS1_3gpuE7ELNS1_3repE0EEENS1_30default_config_static_selectorELNS0_4arch9wavefront6targetE1EEEvSN_
	.p2align	8
	.type	_ZN7rocprim17ROCPRIM_400000_NS6detail17trampoline_kernelINS0_14default_configENS1_37merge_sort_block_sort_config_selectorIN6thrust23THRUST_200600_302600_NS5tupleIffNS6_9null_typeES8_S8_S8_S8_S8_S8_S8_EENS0_10empty_typeEEEZNS1_21merge_sort_block_sortIS3_NS6_6detail15normal_iteratorINS6_10device_ptrIS9_EEEESH_PSA_SI_NS6_4lessIS9_EEEE10hipError_tT0_T1_T2_T3_mRjT4_P12ihipStream_tbNS1_7vsmem_tEEUlT_E_NS1_11comp_targetILNS1_3genE3ELNS1_11target_archE908ELNS1_3gpuE7ELNS1_3repE0EEENS1_30default_config_static_selectorELNS0_4arch9wavefront6targetE1EEEvSN_,@function
_ZN7rocprim17ROCPRIM_400000_NS6detail17trampoline_kernelINS0_14default_configENS1_37merge_sort_block_sort_config_selectorIN6thrust23THRUST_200600_302600_NS5tupleIffNS6_9null_typeES8_S8_S8_S8_S8_S8_S8_EENS0_10empty_typeEEEZNS1_21merge_sort_block_sortIS3_NS6_6detail15normal_iteratorINS6_10device_ptrIS9_EEEESH_PSA_SI_NS6_4lessIS9_EEEE10hipError_tT0_T1_T2_T3_mRjT4_P12ihipStream_tbNS1_7vsmem_tEEUlT_E_NS1_11comp_targetILNS1_3genE3ELNS1_11target_archE908ELNS1_3gpuE7ELNS1_3repE0EEENS1_30default_config_static_selectorELNS0_4arch9wavefront6targetE1EEEvSN_: ; @_ZN7rocprim17ROCPRIM_400000_NS6detail17trampoline_kernelINS0_14default_configENS1_37merge_sort_block_sort_config_selectorIN6thrust23THRUST_200600_302600_NS5tupleIffNS6_9null_typeES8_S8_S8_S8_S8_S8_S8_EENS0_10empty_typeEEEZNS1_21merge_sort_block_sortIS3_NS6_6detail15normal_iteratorINS6_10device_ptrIS9_EEEESH_PSA_SI_NS6_4lessIS9_EEEE10hipError_tT0_T1_T2_T3_mRjT4_P12ihipStream_tbNS1_7vsmem_tEEUlT_E_NS1_11comp_targetILNS1_3genE3ELNS1_11target_archE908ELNS1_3gpuE7ELNS1_3repE0EEENS1_30default_config_static_selectorELNS0_4arch9wavefront6targetE1EEEvSN_
; %bb.0:
	.section	.rodata,"a",@progbits
	.p2align	6, 0x0
	.amdhsa_kernel _ZN7rocprim17ROCPRIM_400000_NS6detail17trampoline_kernelINS0_14default_configENS1_37merge_sort_block_sort_config_selectorIN6thrust23THRUST_200600_302600_NS5tupleIffNS6_9null_typeES8_S8_S8_S8_S8_S8_S8_EENS0_10empty_typeEEEZNS1_21merge_sort_block_sortIS3_NS6_6detail15normal_iteratorINS6_10device_ptrIS9_EEEESH_PSA_SI_NS6_4lessIS9_EEEE10hipError_tT0_T1_T2_T3_mRjT4_P12ihipStream_tbNS1_7vsmem_tEEUlT_E_NS1_11comp_targetILNS1_3genE3ELNS1_11target_archE908ELNS1_3gpuE7ELNS1_3repE0EEENS1_30default_config_static_selectorELNS0_4arch9wavefront6targetE1EEEvSN_
		.amdhsa_group_segment_fixed_size 0
		.amdhsa_private_segment_fixed_size 0
		.amdhsa_kernarg_size 64
		.amdhsa_user_sgpr_count 2
		.amdhsa_user_sgpr_dispatch_ptr 0
		.amdhsa_user_sgpr_queue_ptr 0
		.amdhsa_user_sgpr_kernarg_segment_ptr 1
		.amdhsa_user_sgpr_dispatch_id 0
		.amdhsa_user_sgpr_kernarg_preload_length 0
		.amdhsa_user_sgpr_kernarg_preload_offset 0
		.amdhsa_user_sgpr_private_segment_size 0
		.amdhsa_uses_dynamic_stack 0
		.amdhsa_enable_private_segment 0
		.amdhsa_system_sgpr_workgroup_id_x 1
		.amdhsa_system_sgpr_workgroup_id_y 0
		.amdhsa_system_sgpr_workgroup_id_z 0
		.amdhsa_system_sgpr_workgroup_info 0
		.amdhsa_system_vgpr_workitem_id 0
		.amdhsa_next_free_vgpr 1
		.amdhsa_next_free_sgpr 0
		.amdhsa_accum_offset 4
		.amdhsa_reserve_vcc 0
		.amdhsa_float_round_mode_32 0
		.amdhsa_float_round_mode_16_64 0
		.amdhsa_float_denorm_mode_32 3
		.amdhsa_float_denorm_mode_16_64 3
		.amdhsa_dx10_clamp 1
		.amdhsa_ieee_mode 1
		.amdhsa_fp16_overflow 0
		.amdhsa_tg_split 0
		.amdhsa_exception_fp_ieee_invalid_op 0
		.amdhsa_exception_fp_denorm_src 0
		.amdhsa_exception_fp_ieee_div_zero 0
		.amdhsa_exception_fp_ieee_overflow 0
		.amdhsa_exception_fp_ieee_underflow 0
		.amdhsa_exception_fp_ieee_inexact 0
		.amdhsa_exception_int_div_zero 0
	.end_amdhsa_kernel
	.section	.text._ZN7rocprim17ROCPRIM_400000_NS6detail17trampoline_kernelINS0_14default_configENS1_37merge_sort_block_sort_config_selectorIN6thrust23THRUST_200600_302600_NS5tupleIffNS6_9null_typeES8_S8_S8_S8_S8_S8_S8_EENS0_10empty_typeEEEZNS1_21merge_sort_block_sortIS3_NS6_6detail15normal_iteratorINS6_10device_ptrIS9_EEEESH_PSA_SI_NS6_4lessIS9_EEEE10hipError_tT0_T1_T2_T3_mRjT4_P12ihipStream_tbNS1_7vsmem_tEEUlT_E_NS1_11comp_targetILNS1_3genE3ELNS1_11target_archE908ELNS1_3gpuE7ELNS1_3repE0EEENS1_30default_config_static_selectorELNS0_4arch9wavefront6targetE1EEEvSN_,"axG",@progbits,_ZN7rocprim17ROCPRIM_400000_NS6detail17trampoline_kernelINS0_14default_configENS1_37merge_sort_block_sort_config_selectorIN6thrust23THRUST_200600_302600_NS5tupleIffNS6_9null_typeES8_S8_S8_S8_S8_S8_S8_EENS0_10empty_typeEEEZNS1_21merge_sort_block_sortIS3_NS6_6detail15normal_iteratorINS6_10device_ptrIS9_EEEESH_PSA_SI_NS6_4lessIS9_EEEE10hipError_tT0_T1_T2_T3_mRjT4_P12ihipStream_tbNS1_7vsmem_tEEUlT_E_NS1_11comp_targetILNS1_3genE3ELNS1_11target_archE908ELNS1_3gpuE7ELNS1_3repE0EEENS1_30default_config_static_selectorELNS0_4arch9wavefront6targetE1EEEvSN_,comdat
.Lfunc_end21:
	.size	_ZN7rocprim17ROCPRIM_400000_NS6detail17trampoline_kernelINS0_14default_configENS1_37merge_sort_block_sort_config_selectorIN6thrust23THRUST_200600_302600_NS5tupleIffNS6_9null_typeES8_S8_S8_S8_S8_S8_S8_EENS0_10empty_typeEEEZNS1_21merge_sort_block_sortIS3_NS6_6detail15normal_iteratorINS6_10device_ptrIS9_EEEESH_PSA_SI_NS6_4lessIS9_EEEE10hipError_tT0_T1_T2_T3_mRjT4_P12ihipStream_tbNS1_7vsmem_tEEUlT_E_NS1_11comp_targetILNS1_3genE3ELNS1_11target_archE908ELNS1_3gpuE7ELNS1_3repE0EEENS1_30default_config_static_selectorELNS0_4arch9wavefront6targetE1EEEvSN_, .Lfunc_end21-_ZN7rocprim17ROCPRIM_400000_NS6detail17trampoline_kernelINS0_14default_configENS1_37merge_sort_block_sort_config_selectorIN6thrust23THRUST_200600_302600_NS5tupleIffNS6_9null_typeES8_S8_S8_S8_S8_S8_S8_EENS0_10empty_typeEEEZNS1_21merge_sort_block_sortIS3_NS6_6detail15normal_iteratorINS6_10device_ptrIS9_EEEESH_PSA_SI_NS6_4lessIS9_EEEE10hipError_tT0_T1_T2_T3_mRjT4_P12ihipStream_tbNS1_7vsmem_tEEUlT_E_NS1_11comp_targetILNS1_3genE3ELNS1_11target_archE908ELNS1_3gpuE7ELNS1_3repE0EEENS1_30default_config_static_selectorELNS0_4arch9wavefront6targetE1EEEvSN_
                                        ; -- End function
	.section	.AMDGPU.csdata,"",@progbits
; Kernel info:
; codeLenInByte = 0
; NumSgprs: 6
; NumVgprs: 0
; NumAgprs: 0
; TotalNumVgprs: 0
; ScratchSize: 0
; MemoryBound: 0
; FloatMode: 240
; IeeeMode: 1
; LDSByteSize: 0 bytes/workgroup (compile time only)
; SGPRBlocks: 0
; VGPRBlocks: 0
; NumSGPRsForWavesPerEU: 6
; NumVGPRsForWavesPerEU: 1
; AccumOffset: 4
; Occupancy: 8
; WaveLimiterHint : 0
; COMPUTE_PGM_RSRC2:SCRATCH_EN: 0
; COMPUTE_PGM_RSRC2:USER_SGPR: 2
; COMPUTE_PGM_RSRC2:TRAP_HANDLER: 0
; COMPUTE_PGM_RSRC2:TGID_X_EN: 1
; COMPUTE_PGM_RSRC2:TGID_Y_EN: 0
; COMPUTE_PGM_RSRC2:TGID_Z_EN: 0
; COMPUTE_PGM_RSRC2:TIDIG_COMP_CNT: 0
; COMPUTE_PGM_RSRC3_GFX90A:ACCUM_OFFSET: 0
; COMPUTE_PGM_RSRC3_GFX90A:TG_SPLIT: 0
	.section	.text._ZN7rocprim17ROCPRIM_400000_NS6detail17trampoline_kernelINS0_14default_configENS1_37merge_sort_block_sort_config_selectorIN6thrust23THRUST_200600_302600_NS5tupleIffNS6_9null_typeES8_S8_S8_S8_S8_S8_S8_EENS0_10empty_typeEEEZNS1_21merge_sort_block_sortIS3_NS6_6detail15normal_iteratorINS6_10device_ptrIS9_EEEESH_PSA_SI_NS6_4lessIS9_EEEE10hipError_tT0_T1_T2_T3_mRjT4_P12ihipStream_tbNS1_7vsmem_tEEUlT_E_NS1_11comp_targetILNS1_3genE2ELNS1_11target_archE906ELNS1_3gpuE6ELNS1_3repE0EEENS1_30default_config_static_selectorELNS0_4arch9wavefront6targetE1EEEvSN_,"axG",@progbits,_ZN7rocprim17ROCPRIM_400000_NS6detail17trampoline_kernelINS0_14default_configENS1_37merge_sort_block_sort_config_selectorIN6thrust23THRUST_200600_302600_NS5tupleIffNS6_9null_typeES8_S8_S8_S8_S8_S8_S8_EENS0_10empty_typeEEEZNS1_21merge_sort_block_sortIS3_NS6_6detail15normal_iteratorINS6_10device_ptrIS9_EEEESH_PSA_SI_NS6_4lessIS9_EEEE10hipError_tT0_T1_T2_T3_mRjT4_P12ihipStream_tbNS1_7vsmem_tEEUlT_E_NS1_11comp_targetILNS1_3genE2ELNS1_11target_archE906ELNS1_3gpuE6ELNS1_3repE0EEENS1_30default_config_static_selectorELNS0_4arch9wavefront6targetE1EEEvSN_,comdat
	.protected	_ZN7rocprim17ROCPRIM_400000_NS6detail17trampoline_kernelINS0_14default_configENS1_37merge_sort_block_sort_config_selectorIN6thrust23THRUST_200600_302600_NS5tupleIffNS6_9null_typeES8_S8_S8_S8_S8_S8_S8_EENS0_10empty_typeEEEZNS1_21merge_sort_block_sortIS3_NS6_6detail15normal_iteratorINS6_10device_ptrIS9_EEEESH_PSA_SI_NS6_4lessIS9_EEEE10hipError_tT0_T1_T2_T3_mRjT4_P12ihipStream_tbNS1_7vsmem_tEEUlT_E_NS1_11comp_targetILNS1_3genE2ELNS1_11target_archE906ELNS1_3gpuE6ELNS1_3repE0EEENS1_30default_config_static_selectorELNS0_4arch9wavefront6targetE1EEEvSN_ ; -- Begin function _ZN7rocprim17ROCPRIM_400000_NS6detail17trampoline_kernelINS0_14default_configENS1_37merge_sort_block_sort_config_selectorIN6thrust23THRUST_200600_302600_NS5tupleIffNS6_9null_typeES8_S8_S8_S8_S8_S8_S8_EENS0_10empty_typeEEEZNS1_21merge_sort_block_sortIS3_NS6_6detail15normal_iteratorINS6_10device_ptrIS9_EEEESH_PSA_SI_NS6_4lessIS9_EEEE10hipError_tT0_T1_T2_T3_mRjT4_P12ihipStream_tbNS1_7vsmem_tEEUlT_E_NS1_11comp_targetILNS1_3genE2ELNS1_11target_archE906ELNS1_3gpuE6ELNS1_3repE0EEENS1_30default_config_static_selectorELNS0_4arch9wavefront6targetE1EEEvSN_
	.globl	_ZN7rocprim17ROCPRIM_400000_NS6detail17trampoline_kernelINS0_14default_configENS1_37merge_sort_block_sort_config_selectorIN6thrust23THRUST_200600_302600_NS5tupleIffNS6_9null_typeES8_S8_S8_S8_S8_S8_S8_EENS0_10empty_typeEEEZNS1_21merge_sort_block_sortIS3_NS6_6detail15normal_iteratorINS6_10device_ptrIS9_EEEESH_PSA_SI_NS6_4lessIS9_EEEE10hipError_tT0_T1_T2_T3_mRjT4_P12ihipStream_tbNS1_7vsmem_tEEUlT_E_NS1_11comp_targetILNS1_3genE2ELNS1_11target_archE906ELNS1_3gpuE6ELNS1_3repE0EEENS1_30default_config_static_selectorELNS0_4arch9wavefront6targetE1EEEvSN_
	.p2align	8
	.type	_ZN7rocprim17ROCPRIM_400000_NS6detail17trampoline_kernelINS0_14default_configENS1_37merge_sort_block_sort_config_selectorIN6thrust23THRUST_200600_302600_NS5tupleIffNS6_9null_typeES8_S8_S8_S8_S8_S8_S8_EENS0_10empty_typeEEEZNS1_21merge_sort_block_sortIS3_NS6_6detail15normal_iteratorINS6_10device_ptrIS9_EEEESH_PSA_SI_NS6_4lessIS9_EEEE10hipError_tT0_T1_T2_T3_mRjT4_P12ihipStream_tbNS1_7vsmem_tEEUlT_E_NS1_11comp_targetILNS1_3genE2ELNS1_11target_archE906ELNS1_3gpuE6ELNS1_3repE0EEENS1_30default_config_static_selectorELNS0_4arch9wavefront6targetE1EEEvSN_,@function
_ZN7rocprim17ROCPRIM_400000_NS6detail17trampoline_kernelINS0_14default_configENS1_37merge_sort_block_sort_config_selectorIN6thrust23THRUST_200600_302600_NS5tupleIffNS6_9null_typeES8_S8_S8_S8_S8_S8_S8_EENS0_10empty_typeEEEZNS1_21merge_sort_block_sortIS3_NS6_6detail15normal_iteratorINS6_10device_ptrIS9_EEEESH_PSA_SI_NS6_4lessIS9_EEEE10hipError_tT0_T1_T2_T3_mRjT4_P12ihipStream_tbNS1_7vsmem_tEEUlT_E_NS1_11comp_targetILNS1_3genE2ELNS1_11target_archE906ELNS1_3gpuE6ELNS1_3repE0EEENS1_30default_config_static_selectorELNS0_4arch9wavefront6targetE1EEEvSN_: ; @_ZN7rocprim17ROCPRIM_400000_NS6detail17trampoline_kernelINS0_14default_configENS1_37merge_sort_block_sort_config_selectorIN6thrust23THRUST_200600_302600_NS5tupleIffNS6_9null_typeES8_S8_S8_S8_S8_S8_S8_EENS0_10empty_typeEEEZNS1_21merge_sort_block_sortIS3_NS6_6detail15normal_iteratorINS6_10device_ptrIS9_EEEESH_PSA_SI_NS6_4lessIS9_EEEE10hipError_tT0_T1_T2_T3_mRjT4_P12ihipStream_tbNS1_7vsmem_tEEUlT_E_NS1_11comp_targetILNS1_3genE2ELNS1_11target_archE906ELNS1_3gpuE6ELNS1_3repE0EEENS1_30default_config_static_selectorELNS0_4arch9wavefront6targetE1EEEvSN_
; %bb.0:
	.section	.rodata,"a",@progbits
	.p2align	6, 0x0
	.amdhsa_kernel _ZN7rocprim17ROCPRIM_400000_NS6detail17trampoline_kernelINS0_14default_configENS1_37merge_sort_block_sort_config_selectorIN6thrust23THRUST_200600_302600_NS5tupleIffNS6_9null_typeES8_S8_S8_S8_S8_S8_S8_EENS0_10empty_typeEEEZNS1_21merge_sort_block_sortIS3_NS6_6detail15normal_iteratorINS6_10device_ptrIS9_EEEESH_PSA_SI_NS6_4lessIS9_EEEE10hipError_tT0_T1_T2_T3_mRjT4_P12ihipStream_tbNS1_7vsmem_tEEUlT_E_NS1_11comp_targetILNS1_3genE2ELNS1_11target_archE906ELNS1_3gpuE6ELNS1_3repE0EEENS1_30default_config_static_selectorELNS0_4arch9wavefront6targetE1EEEvSN_
		.amdhsa_group_segment_fixed_size 0
		.amdhsa_private_segment_fixed_size 0
		.amdhsa_kernarg_size 64
		.amdhsa_user_sgpr_count 2
		.amdhsa_user_sgpr_dispatch_ptr 0
		.amdhsa_user_sgpr_queue_ptr 0
		.amdhsa_user_sgpr_kernarg_segment_ptr 1
		.amdhsa_user_sgpr_dispatch_id 0
		.amdhsa_user_sgpr_kernarg_preload_length 0
		.amdhsa_user_sgpr_kernarg_preload_offset 0
		.amdhsa_user_sgpr_private_segment_size 0
		.amdhsa_uses_dynamic_stack 0
		.amdhsa_enable_private_segment 0
		.amdhsa_system_sgpr_workgroup_id_x 1
		.amdhsa_system_sgpr_workgroup_id_y 0
		.amdhsa_system_sgpr_workgroup_id_z 0
		.amdhsa_system_sgpr_workgroup_info 0
		.amdhsa_system_vgpr_workitem_id 0
		.amdhsa_next_free_vgpr 1
		.amdhsa_next_free_sgpr 0
		.amdhsa_accum_offset 4
		.amdhsa_reserve_vcc 0
		.amdhsa_float_round_mode_32 0
		.amdhsa_float_round_mode_16_64 0
		.amdhsa_float_denorm_mode_32 3
		.amdhsa_float_denorm_mode_16_64 3
		.amdhsa_dx10_clamp 1
		.amdhsa_ieee_mode 1
		.amdhsa_fp16_overflow 0
		.amdhsa_tg_split 0
		.amdhsa_exception_fp_ieee_invalid_op 0
		.amdhsa_exception_fp_denorm_src 0
		.amdhsa_exception_fp_ieee_div_zero 0
		.amdhsa_exception_fp_ieee_overflow 0
		.amdhsa_exception_fp_ieee_underflow 0
		.amdhsa_exception_fp_ieee_inexact 0
		.amdhsa_exception_int_div_zero 0
	.end_amdhsa_kernel
	.section	.text._ZN7rocprim17ROCPRIM_400000_NS6detail17trampoline_kernelINS0_14default_configENS1_37merge_sort_block_sort_config_selectorIN6thrust23THRUST_200600_302600_NS5tupleIffNS6_9null_typeES8_S8_S8_S8_S8_S8_S8_EENS0_10empty_typeEEEZNS1_21merge_sort_block_sortIS3_NS6_6detail15normal_iteratorINS6_10device_ptrIS9_EEEESH_PSA_SI_NS6_4lessIS9_EEEE10hipError_tT0_T1_T2_T3_mRjT4_P12ihipStream_tbNS1_7vsmem_tEEUlT_E_NS1_11comp_targetILNS1_3genE2ELNS1_11target_archE906ELNS1_3gpuE6ELNS1_3repE0EEENS1_30default_config_static_selectorELNS0_4arch9wavefront6targetE1EEEvSN_,"axG",@progbits,_ZN7rocprim17ROCPRIM_400000_NS6detail17trampoline_kernelINS0_14default_configENS1_37merge_sort_block_sort_config_selectorIN6thrust23THRUST_200600_302600_NS5tupleIffNS6_9null_typeES8_S8_S8_S8_S8_S8_S8_EENS0_10empty_typeEEEZNS1_21merge_sort_block_sortIS3_NS6_6detail15normal_iteratorINS6_10device_ptrIS9_EEEESH_PSA_SI_NS6_4lessIS9_EEEE10hipError_tT0_T1_T2_T3_mRjT4_P12ihipStream_tbNS1_7vsmem_tEEUlT_E_NS1_11comp_targetILNS1_3genE2ELNS1_11target_archE906ELNS1_3gpuE6ELNS1_3repE0EEENS1_30default_config_static_selectorELNS0_4arch9wavefront6targetE1EEEvSN_,comdat
.Lfunc_end22:
	.size	_ZN7rocprim17ROCPRIM_400000_NS6detail17trampoline_kernelINS0_14default_configENS1_37merge_sort_block_sort_config_selectorIN6thrust23THRUST_200600_302600_NS5tupleIffNS6_9null_typeES8_S8_S8_S8_S8_S8_S8_EENS0_10empty_typeEEEZNS1_21merge_sort_block_sortIS3_NS6_6detail15normal_iteratorINS6_10device_ptrIS9_EEEESH_PSA_SI_NS6_4lessIS9_EEEE10hipError_tT0_T1_T2_T3_mRjT4_P12ihipStream_tbNS1_7vsmem_tEEUlT_E_NS1_11comp_targetILNS1_3genE2ELNS1_11target_archE906ELNS1_3gpuE6ELNS1_3repE0EEENS1_30default_config_static_selectorELNS0_4arch9wavefront6targetE1EEEvSN_, .Lfunc_end22-_ZN7rocprim17ROCPRIM_400000_NS6detail17trampoline_kernelINS0_14default_configENS1_37merge_sort_block_sort_config_selectorIN6thrust23THRUST_200600_302600_NS5tupleIffNS6_9null_typeES8_S8_S8_S8_S8_S8_S8_EENS0_10empty_typeEEEZNS1_21merge_sort_block_sortIS3_NS6_6detail15normal_iteratorINS6_10device_ptrIS9_EEEESH_PSA_SI_NS6_4lessIS9_EEEE10hipError_tT0_T1_T2_T3_mRjT4_P12ihipStream_tbNS1_7vsmem_tEEUlT_E_NS1_11comp_targetILNS1_3genE2ELNS1_11target_archE906ELNS1_3gpuE6ELNS1_3repE0EEENS1_30default_config_static_selectorELNS0_4arch9wavefront6targetE1EEEvSN_
                                        ; -- End function
	.section	.AMDGPU.csdata,"",@progbits
; Kernel info:
; codeLenInByte = 0
; NumSgprs: 6
; NumVgprs: 0
; NumAgprs: 0
; TotalNumVgprs: 0
; ScratchSize: 0
; MemoryBound: 0
; FloatMode: 240
; IeeeMode: 1
; LDSByteSize: 0 bytes/workgroup (compile time only)
; SGPRBlocks: 0
; VGPRBlocks: 0
; NumSGPRsForWavesPerEU: 6
; NumVGPRsForWavesPerEU: 1
; AccumOffset: 4
; Occupancy: 8
; WaveLimiterHint : 0
; COMPUTE_PGM_RSRC2:SCRATCH_EN: 0
; COMPUTE_PGM_RSRC2:USER_SGPR: 2
; COMPUTE_PGM_RSRC2:TRAP_HANDLER: 0
; COMPUTE_PGM_RSRC2:TGID_X_EN: 1
; COMPUTE_PGM_RSRC2:TGID_Y_EN: 0
; COMPUTE_PGM_RSRC2:TGID_Z_EN: 0
; COMPUTE_PGM_RSRC2:TIDIG_COMP_CNT: 0
; COMPUTE_PGM_RSRC3_GFX90A:ACCUM_OFFSET: 0
; COMPUTE_PGM_RSRC3_GFX90A:TG_SPLIT: 0
	.section	.text._ZN7rocprim17ROCPRIM_400000_NS6detail17trampoline_kernelINS0_14default_configENS1_37merge_sort_block_sort_config_selectorIN6thrust23THRUST_200600_302600_NS5tupleIffNS6_9null_typeES8_S8_S8_S8_S8_S8_S8_EENS0_10empty_typeEEEZNS1_21merge_sort_block_sortIS3_NS6_6detail15normal_iteratorINS6_10device_ptrIS9_EEEESH_PSA_SI_NS6_4lessIS9_EEEE10hipError_tT0_T1_T2_T3_mRjT4_P12ihipStream_tbNS1_7vsmem_tEEUlT_E_NS1_11comp_targetILNS1_3genE10ELNS1_11target_archE1201ELNS1_3gpuE5ELNS1_3repE0EEENS1_30default_config_static_selectorELNS0_4arch9wavefront6targetE1EEEvSN_,"axG",@progbits,_ZN7rocprim17ROCPRIM_400000_NS6detail17trampoline_kernelINS0_14default_configENS1_37merge_sort_block_sort_config_selectorIN6thrust23THRUST_200600_302600_NS5tupleIffNS6_9null_typeES8_S8_S8_S8_S8_S8_S8_EENS0_10empty_typeEEEZNS1_21merge_sort_block_sortIS3_NS6_6detail15normal_iteratorINS6_10device_ptrIS9_EEEESH_PSA_SI_NS6_4lessIS9_EEEE10hipError_tT0_T1_T2_T3_mRjT4_P12ihipStream_tbNS1_7vsmem_tEEUlT_E_NS1_11comp_targetILNS1_3genE10ELNS1_11target_archE1201ELNS1_3gpuE5ELNS1_3repE0EEENS1_30default_config_static_selectorELNS0_4arch9wavefront6targetE1EEEvSN_,comdat
	.protected	_ZN7rocprim17ROCPRIM_400000_NS6detail17trampoline_kernelINS0_14default_configENS1_37merge_sort_block_sort_config_selectorIN6thrust23THRUST_200600_302600_NS5tupleIffNS6_9null_typeES8_S8_S8_S8_S8_S8_S8_EENS0_10empty_typeEEEZNS1_21merge_sort_block_sortIS3_NS6_6detail15normal_iteratorINS6_10device_ptrIS9_EEEESH_PSA_SI_NS6_4lessIS9_EEEE10hipError_tT0_T1_T2_T3_mRjT4_P12ihipStream_tbNS1_7vsmem_tEEUlT_E_NS1_11comp_targetILNS1_3genE10ELNS1_11target_archE1201ELNS1_3gpuE5ELNS1_3repE0EEENS1_30default_config_static_selectorELNS0_4arch9wavefront6targetE1EEEvSN_ ; -- Begin function _ZN7rocprim17ROCPRIM_400000_NS6detail17trampoline_kernelINS0_14default_configENS1_37merge_sort_block_sort_config_selectorIN6thrust23THRUST_200600_302600_NS5tupleIffNS6_9null_typeES8_S8_S8_S8_S8_S8_S8_EENS0_10empty_typeEEEZNS1_21merge_sort_block_sortIS3_NS6_6detail15normal_iteratorINS6_10device_ptrIS9_EEEESH_PSA_SI_NS6_4lessIS9_EEEE10hipError_tT0_T1_T2_T3_mRjT4_P12ihipStream_tbNS1_7vsmem_tEEUlT_E_NS1_11comp_targetILNS1_3genE10ELNS1_11target_archE1201ELNS1_3gpuE5ELNS1_3repE0EEENS1_30default_config_static_selectorELNS0_4arch9wavefront6targetE1EEEvSN_
	.globl	_ZN7rocprim17ROCPRIM_400000_NS6detail17trampoline_kernelINS0_14default_configENS1_37merge_sort_block_sort_config_selectorIN6thrust23THRUST_200600_302600_NS5tupleIffNS6_9null_typeES8_S8_S8_S8_S8_S8_S8_EENS0_10empty_typeEEEZNS1_21merge_sort_block_sortIS3_NS6_6detail15normal_iteratorINS6_10device_ptrIS9_EEEESH_PSA_SI_NS6_4lessIS9_EEEE10hipError_tT0_T1_T2_T3_mRjT4_P12ihipStream_tbNS1_7vsmem_tEEUlT_E_NS1_11comp_targetILNS1_3genE10ELNS1_11target_archE1201ELNS1_3gpuE5ELNS1_3repE0EEENS1_30default_config_static_selectorELNS0_4arch9wavefront6targetE1EEEvSN_
	.p2align	8
	.type	_ZN7rocprim17ROCPRIM_400000_NS6detail17trampoline_kernelINS0_14default_configENS1_37merge_sort_block_sort_config_selectorIN6thrust23THRUST_200600_302600_NS5tupleIffNS6_9null_typeES8_S8_S8_S8_S8_S8_S8_EENS0_10empty_typeEEEZNS1_21merge_sort_block_sortIS3_NS6_6detail15normal_iteratorINS6_10device_ptrIS9_EEEESH_PSA_SI_NS6_4lessIS9_EEEE10hipError_tT0_T1_T2_T3_mRjT4_P12ihipStream_tbNS1_7vsmem_tEEUlT_E_NS1_11comp_targetILNS1_3genE10ELNS1_11target_archE1201ELNS1_3gpuE5ELNS1_3repE0EEENS1_30default_config_static_selectorELNS0_4arch9wavefront6targetE1EEEvSN_,@function
_ZN7rocprim17ROCPRIM_400000_NS6detail17trampoline_kernelINS0_14default_configENS1_37merge_sort_block_sort_config_selectorIN6thrust23THRUST_200600_302600_NS5tupleIffNS6_9null_typeES8_S8_S8_S8_S8_S8_S8_EENS0_10empty_typeEEEZNS1_21merge_sort_block_sortIS3_NS6_6detail15normal_iteratorINS6_10device_ptrIS9_EEEESH_PSA_SI_NS6_4lessIS9_EEEE10hipError_tT0_T1_T2_T3_mRjT4_P12ihipStream_tbNS1_7vsmem_tEEUlT_E_NS1_11comp_targetILNS1_3genE10ELNS1_11target_archE1201ELNS1_3gpuE5ELNS1_3repE0EEENS1_30default_config_static_selectorELNS0_4arch9wavefront6targetE1EEEvSN_: ; @_ZN7rocprim17ROCPRIM_400000_NS6detail17trampoline_kernelINS0_14default_configENS1_37merge_sort_block_sort_config_selectorIN6thrust23THRUST_200600_302600_NS5tupleIffNS6_9null_typeES8_S8_S8_S8_S8_S8_S8_EENS0_10empty_typeEEEZNS1_21merge_sort_block_sortIS3_NS6_6detail15normal_iteratorINS6_10device_ptrIS9_EEEESH_PSA_SI_NS6_4lessIS9_EEEE10hipError_tT0_T1_T2_T3_mRjT4_P12ihipStream_tbNS1_7vsmem_tEEUlT_E_NS1_11comp_targetILNS1_3genE10ELNS1_11target_archE1201ELNS1_3gpuE5ELNS1_3repE0EEENS1_30default_config_static_selectorELNS0_4arch9wavefront6targetE1EEEvSN_
; %bb.0:
	.section	.rodata,"a",@progbits
	.p2align	6, 0x0
	.amdhsa_kernel _ZN7rocprim17ROCPRIM_400000_NS6detail17trampoline_kernelINS0_14default_configENS1_37merge_sort_block_sort_config_selectorIN6thrust23THRUST_200600_302600_NS5tupleIffNS6_9null_typeES8_S8_S8_S8_S8_S8_S8_EENS0_10empty_typeEEEZNS1_21merge_sort_block_sortIS3_NS6_6detail15normal_iteratorINS6_10device_ptrIS9_EEEESH_PSA_SI_NS6_4lessIS9_EEEE10hipError_tT0_T1_T2_T3_mRjT4_P12ihipStream_tbNS1_7vsmem_tEEUlT_E_NS1_11comp_targetILNS1_3genE10ELNS1_11target_archE1201ELNS1_3gpuE5ELNS1_3repE0EEENS1_30default_config_static_selectorELNS0_4arch9wavefront6targetE1EEEvSN_
		.amdhsa_group_segment_fixed_size 0
		.amdhsa_private_segment_fixed_size 0
		.amdhsa_kernarg_size 64
		.amdhsa_user_sgpr_count 2
		.amdhsa_user_sgpr_dispatch_ptr 0
		.amdhsa_user_sgpr_queue_ptr 0
		.amdhsa_user_sgpr_kernarg_segment_ptr 1
		.amdhsa_user_sgpr_dispatch_id 0
		.amdhsa_user_sgpr_kernarg_preload_length 0
		.amdhsa_user_sgpr_kernarg_preload_offset 0
		.amdhsa_user_sgpr_private_segment_size 0
		.amdhsa_uses_dynamic_stack 0
		.amdhsa_enable_private_segment 0
		.amdhsa_system_sgpr_workgroup_id_x 1
		.amdhsa_system_sgpr_workgroup_id_y 0
		.amdhsa_system_sgpr_workgroup_id_z 0
		.amdhsa_system_sgpr_workgroup_info 0
		.amdhsa_system_vgpr_workitem_id 0
		.amdhsa_next_free_vgpr 1
		.amdhsa_next_free_sgpr 0
		.amdhsa_accum_offset 4
		.amdhsa_reserve_vcc 0
		.amdhsa_float_round_mode_32 0
		.amdhsa_float_round_mode_16_64 0
		.amdhsa_float_denorm_mode_32 3
		.amdhsa_float_denorm_mode_16_64 3
		.amdhsa_dx10_clamp 1
		.amdhsa_ieee_mode 1
		.amdhsa_fp16_overflow 0
		.amdhsa_tg_split 0
		.amdhsa_exception_fp_ieee_invalid_op 0
		.amdhsa_exception_fp_denorm_src 0
		.amdhsa_exception_fp_ieee_div_zero 0
		.amdhsa_exception_fp_ieee_overflow 0
		.amdhsa_exception_fp_ieee_underflow 0
		.amdhsa_exception_fp_ieee_inexact 0
		.amdhsa_exception_int_div_zero 0
	.end_amdhsa_kernel
	.section	.text._ZN7rocprim17ROCPRIM_400000_NS6detail17trampoline_kernelINS0_14default_configENS1_37merge_sort_block_sort_config_selectorIN6thrust23THRUST_200600_302600_NS5tupleIffNS6_9null_typeES8_S8_S8_S8_S8_S8_S8_EENS0_10empty_typeEEEZNS1_21merge_sort_block_sortIS3_NS6_6detail15normal_iteratorINS6_10device_ptrIS9_EEEESH_PSA_SI_NS6_4lessIS9_EEEE10hipError_tT0_T1_T2_T3_mRjT4_P12ihipStream_tbNS1_7vsmem_tEEUlT_E_NS1_11comp_targetILNS1_3genE10ELNS1_11target_archE1201ELNS1_3gpuE5ELNS1_3repE0EEENS1_30default_config_static_selectorELNS0_4arch9wavefront6targetE1EEEvSN_,"axG",@progbits,_ZN7rocprim17ROCPRIM_400000_NS6detail17trampoline_kernelINS0_14default_configENS1_37merge_sort_block_sort_config_selectorIN6thrust23THRUST_200600_302600_NS5tupleIffNS6_9null_typeES8_S8_S8_S8_S8_S8_S8_EENS0_10empty_typeEEEZNS1_21merge_sort_block_sortIS3_NS6_6detail15normal_iteratorINS6_10device_ptrIS9_EEEESH_PSA_SI_NS6_4lessIS9_EEEE10hipError_tT0_T1_T2_T3_mRjT4_P12ihipStream_tbNS1_7vsmem_tEEUlT_E_NS1_11comp_targetILNS1_3genE10ELNS1_11target_archE1201ELNS1_3gpuE5ELNS1_3repE0EEENS1_30default_config_static_selectorELNS0_4arch9wavefront6targetE1EEEvSN_,comdat
.Lfunc_end23:
	.size	_ZN7rocprim17ROCPRIM_400000_NS6detail17trampoline_kernelINS0_14default_configENS1_37merge_sort_block_sort_config_selectorIN6thrust23THRUST_200600_302600_NS5tupleIffNS6_9null_typeES8_S8_S8_S8_S8_S8_S8_EENS0_10empty_typeEEEZNS1_21merge_sort_block_sortIS3_NS6_6detail15normal_iteratorINS6_10device_ptrIS9_EEEESH_PSA_SI_NS6_4lessIS9_EEEE10hipError_tT0_T1_T2_T3_mRjT4_P12ihipStream_tbNS1_7vsmem_tEEUlT_E_NS1_11comp_targetILNS1_3genE10ELNS1_11target_archE1201ELNS1_3gpuE5ELNS1_3repE0EEENS1_30default_config_static_selectorELNS0_4arch9wavefront6targetE1EEEvSN_, .Lfunc_end23-_ZN7rocprim17ROCPRIM_400000_NS6detail17trampoline_kernelINS0_14default_configENS1_37merge_sort_block_sort_config_selectorIN6thrust23THRUST_200600_302600_NS5tupleIffNS6_9null_typeES8_S8_S8_S8_S8_S8_S8_EENS0_10empty_typeEEEZNS1_21merge_sort_block_sortIS3_NS6_6detail15normal_iteratorINS6_10device_ptrIS9_EEEESH_PSA_SI_NS6_4lessIS9_EEEE10hipError_tT0_T1_T2_T3_mRjT4_P12ihipStream_tbNS1_7vsmem_tEEUlT_E_NS1_11comp_targetILNS1_3genE10ELNS1_11target_archE1201ELNS1_3gpuE5ELNS1_3repE0EEENS1_30default_config_static_selectorELNS0_4arch9wavefront6targetE1EEEvSN_
                                        ; -- End function
	.section	.AMDGPU.csdata,"",@progbits
; Kernel info:
; codeLenInByte = 0
; NumSgprs: 6
; NumVgprs: 0
; NumAgprs: 0
; TotalNumVgprs: 0
; ScratchSize: 0
; MemoryBound: 0
; FloatMode: 240
; IeeeMode: 1
; LDSByteSize: 0 bytes/workgroup (compile time only)
; SGPRBlocks: 0
; VGPRBlocks: 0
; NumSGPRsForWavesPerEU: 6
; NumVGPRsForWavesPerEU: 1
; AccumOffset: 4
; Occupancy: 8
; WaveLimiterHint : 0
; COMPUTE_PGM_RSRC2:SCRATCH_EN: 0
; COMPUTE_PGM_RSRC2:USER_SGPR: 2
; COMPUTE_PGM_RSRC2:TRAP_HANDLER: 0
; COMPUTE_PGM_RSRC2:TGID_X_EN: 1
; COMPUTE_PGM_RSRC2:TGID_Y_EN: 0
; COMPUTE_PGM_RSRC2:TGID_Z_EN: 0
; COMPUTE_PGM_RSRC2:TIDIG_COMP_CNT: 0
; COMPUTE_PGM_RSRC3_GFX90A:ACCUM_OFFSET: 0
; COMPUTE_PGM_RSRC3_GFX90A:TG_SPLIT: 0
	.section	.text._ZN7rocprim17ROCPRIM_400000_NS6detail17trampoline_kernelINS0_14default_configENS1_37merge_sort_block_sort_config_selectorIN6thrust23THRUST_200600_302600_NS5tupleIffNS6_9null_typeES8_S8_S8_S8_S8_S8_S8_EENS0_10empty_typeEEEZNS1_21merge_sort_block_sortIS3_NS6_6detail15normal_iteratorINS6_10device_ptrIS9_EEEESH_PSA_SI_NS6_4lessIS9_EEEE10hipError_tT0_T1_T2_T3_mRjT4_P12ihipStream_tbNS1_7vsmem_tEEUlT_E_NS1_11comp_targetILNS1_3genE10ELNS1_11target_archE1200ELNS1_3gpuE4ELNS1_3repE0EEENS1_30default_config_static_selectorELNS0_4arch9wavefront6targetE1EEEvSN_,"axG",@progbits,_ZN7rocprim17ROCPRIM_400000_NS6detail17trampoline_kernelINS0_14default_configENS1_37merge_sort_block_sort_config_selectorIN6thrust23THRUST_200600_302600_NS5tupleIffNS6_9null_typeES8_S8_S8_S8_S8_S8_S8_EENS0_10empty_typeEEEZNS1_21merge_sort_block_sortIS3_NS6_6detail15normal_iteratorINS6_10device_ptrIS9_EEEESH_PSA_SI_NS6_4lessIS9_EEEE10hipError_tT0_T1_T2_T3_mRjT4_P12ihipStream_tbNS1_7vsmem_tEEUlT_E_NS1_11comp_targetILNS1_3genE10ELNS1_11target_archE1200ELNS1_3gpuE4ELNS1_3repE0EEENS1_30default_config_static_selectorELNS0_4arch9wavefront6targetE1EEEvSN_,comdat
	.protected	_ZN7rocprim17ROCPRIM_400000_NS6detail17trampoline_kernelINS0_14default_configENS1_37merge_sort_block_sort_config_selectorIN6thrust23THRUST_200600_302600_NS5tupleIffNS6_9null_typeES8_S8_S8_S8_S8_S8_S8_EENS0_10empty_typeEEEZNS1_21merge_sort_block_sortIS3_NS6_6detail15normal_iteratorINS6_10device_ptrIS9_EEEESH_PSA_SI_NS6_4lessIS9_EEEE10hipError_tT0_T1_T2_T3_mRjT4_P12ihipStream_tbNS1_7vsmem_tEEUlT_E_NS1_11comp_targetILNS1_3genE10ELNS1_11target_archE1200ELNS1_3gpuE4ELNS1_3repE0EEENS1_30default_config_static_selectorELNS0_4arch9wavefront6targetE1EEEvSN_ ; -- Begin function _ZN7rocprim17ROCPRIM_400000_NS6detail17trampoline_kernelINS0_14default_configENS1_37merge_sort_block_sort_config_selectorIN6thrust23THRUST_200600_302600_NS5tupleIffNS6_9null_typeES8_S8_S8_S8_S8_S8_S8_EENS0_10empty_typeEEEZNS1_21merge_sort_block_sortIS3_NS6_6detail15normal_iteratorINS6_10device_ptrIS9_EEEESH_PSA_SI_NS6_4lessIS9_EEEE10hipError_tT0_T1_T2_T3_mRjT4_P12ihipStream_tbNS1_7vsmem_tEEUlT_E_NS1_11comp_targetILNS1_3genE10ELNS1_11target_archE1200ELNS1_3gpuE4ELNS1_3repE0EEENS1_30default_config_static_selectorELNS0_4arch9wavefront6targetE1EEEvSN_
	.globl	_ZN7rocprim17ROCPRIM_400000_NS6detail17trampoline_kernelINS0_14default_configENS1_37merge_sort_block_sort_config_selectorIN6thrust23THRUST_200600_302600_NS5tupleIffNS6_9null_typeES8_S8_S8_S8_S8_S8_S8_EENS0_10empty_typeEEEZNS1_21merge_sort_block_sortIS3_NS6_6detail15normal_iteratorINS6_10device_ptrIS9_EEEESH_PSA_SI_NS6_4lessIS9_EEEE10hipError_tT0_T1_T2_T3_mRjT4_P12ihipStream_tbNS1_7vsmem_tEEUlT_E_NS1_11comp_targetILNS1_3genE10ELNS1_11target_archE1200ELNS1_3gpuE4ELNS1_3repE0EEENS1_30default_config_static_selectorELNS0_4arch9wavefront6targetE1EEEvSN_
	.p2align	8
	.type	_ZN7rocprim17ROCPRIM_400000_NS6detail17trampoline_kernelINS0_14default_configENS1_37merge_sort_block_sort_config_selectorIN6thrust23THRUST_200600_302600_NS5tupleIffNS6_9null_typeES8_S8_S8_S8_S8_S8_S8_EENS0_10empty_typeEEEZNS1_21merge_sort_block_sortIS3_NS6_6detail15normal_iteratorINS6_10device_ptrIS9_EEEESH_PSA_SI_NS6_4lessIS9_EEEE10hipError_tT0_T1_T2_T3_mRjT4_P12ihipStream_tbNS1_7vsmem_tEEUlT_E_NS1_11comp_targetILNS1_3genE10ELNS1_11target_archE1200ELNS1_3gpuE4ELNS1_3repE0EEENS1_30default_config_static_selectorELNS0_4arch9wavefront6targetE1EEEvSN_,@function
_ZN7rocprim17ROCPRIM_400000_NS6detail17trampoline_kernelINS0_14default_configENS1_37merge_sort_block_sort_config_selectorIN6thrust23THRUST_200600_302600_NS5tupleIffNS6_9null_typeES8_S8_S8_S8_S8_S8_S8_EENS0_10empty_typeEEEZNS1_21merge_sort_block_sortIS3_NS6_6detail15normal_iteratorINS6_10device_ptrIS9_EEEESH_PSA_SI_NS6_4lessIS9_EEEE10hipError_tT0_T1_T2_T3_mRjT4_P12ihipStream_tbNS1_7vsmem_tEEUlT_E_NS1_11comp_targetILNS1_3genE10ELNS1_11target_archE1200ELNS1_3gpuE4ELNS1_3repE0EEENS1_30default_config_static_selectorELNS0_4arch9wavefront6targetE1EEEvSN_: ; @_ZN7rocprim17ROCPRIM_400000_NS6detail17trampoline_kernelINS0_14default_configENS1_37merge_sort_block_sort_config_selectorIN6thrust23THRUST_200600_302600_NS5tupleIffNS6_9null_typeES8_S8_S8_S8_S8_S8_S8_EENS0_10empty_typeEEEZNS1_21merge_sort_block_sortIS3_NS6_6detail15normal_iteratorINS6_10device_ptrIS9_EEEESH_PSA_SI_NS6_4lessIS9_EEEE10hipError_tT0_T1_T2_T3_mRjT4_P12ihipStream_tbNS1_7vsmem_tEEUlT_E_NS1_11comp_targetILNS1_3genE10ELNS1_11target_archE1200ELNS1_3gpuE4ELNS1_3repE0EEENS1_30default_config_static_selectorELNS0_4arch9wavefront6targetE1EEEvSN_
; %bb.0:
	.section	.rodata,"a",@progbits
	.p2align	6, 0x0
	.amdhsa_kernel _ZN7rocprim17ROCPRIM_400000_NS6detail17trampoline_kernelINS0_14default_configENS1_37merge_sort_block_sort_config_selectorIN6thrust23THRUST_200600_302600_NS5tupleIffNS6_9null_typeES8_S8_S8_S8_S8_S8_S8_EENS0_10empty_typeEEEZNS1_21merge_sort_block_sortIS3_NS6_6detail15normal_iteratorINS6_10device_ptrIS9_EEEESH_PSA_SI_NS6_4lessIS9_EEEE10hipError_tT0_T1_T2_T3_mRjT4_P12ihipStream_tbNS1_7vsmem_tEEUlT_E_NS1_11comp_targetILNS1_3genE10ELNS1_11target_archE1200ELNS1_3gpuE4ELNS1_3repE0EEENS1_30default_config_static_selectorELNS0_4arch9wavefront6targetE1EEEvSN_
		.amdhsa_group_segment_fixed_size 0
		.amdhsa_private_segment_fixed_size 0
		.amdhsa_kernarg_size 64
		.amdhsa_user_sgpr_count 2
		.amdhsa_user_sgpr_dispatch_ptr 0
		.amdhsa_user_sgpr_queue_ptr 0
		.amdhsa_user_sgpr_kernarg_segment_ptr 1
		.amdhsa_user_sgpr_dispatch_id 0
		.amdhsa_user_sgpr_kernarg_preload_length 0
		.amdhsa_user_sgpr_kernarg_preload_offset 0
		.amdhsa_user_sgpr_private_segment_size 0
		.amdhsa_uses_dynamic_stack 0
		.amdhsa_enable_private_segment 0
		.amdhsa_system_sgpr_workgroup_id_x 1
		.amdhsa_system_sgpr_workgroup_id_y 0
		.amdhsa_system_sgpr_workgroup_id_z 0
		.amdhsa_system_sgpr_workgroup_info 0
		.amdhsa_system_vgpr_workitem_id 0
		.amdhsa_next_free_vgpr 1
		.amdhsa_next_free_sgpr 0
		.amdhsa_accum_offset 4
		.amdhsa_reserve_vcc 0
		.amdhsa_float_round_mode_32 0
		.amdhsa_float_round_mode_16_64 0
		.amdhsa_float_denorm_mode_32 3
		.amdhsa_float_denorm_mode_16_64 3
		.amdhsa_dx10_clamp 1
		.amdhsa_ieee_mode 1
		.amdhsa_fp16_overflow 0
		.amdhsa_tg_split 0
		.amdhsa_exception_fp_ieee_invalid_op 0
		.amdhsa_exception_fp_denorm_src 0
		.amdhsa_exception_fp_ieee_div_zero 0
		.amdhsa_exception_fp_ieee_overflow 0
		.amdhsa_exception_fp_ieee_underflow 0
		.amdhsa_exception_fp_ieee_inexact 0
		.amdhsa_exception_int_div_zero 0
	.end_amdhsa_kernel
	.section	.text._ZN7rocprim17ROCPRIM_400000_NS6detail17trampoline_kernelINS0_14default_configENS1_37merge_sort_block_sort_config_selectorIN6thrust23THRUST_200600_302600_NS5tupleIffNS6_9null_typeES8_S8_S8_S8_S8_S8_S8_EENS0_10empty_typeEEEZNS1_21merge_sort_block_sortIS3_NS6_6detail15normal_iteratorINS6_10device_ptrIS9_EEEESH_PSA_SI_NS6_4lessIS9_EEEE10hipError_tT0_T1_T2_T3_mRjT4_P12ihipStream_tbNS1_7vsmem_tEEUlT_E_NS1_11comp_targetILNS1_3genE10ELNS1_11target_archE1200ELNS1_3gpuE4ELNS1_3repE0EEENS1_30default_config_static_selectorELNS0_4arch9wavefront6targetE1EEEvSN_,"axG",@progbits,_ZN7rocprim17ROCPRIM_400000_NS6detail17trampoline_kernelINS0_14default_configENS1_37merge_sort_block_sort_config_selectorIN6thrust23THRUST_200600_302600_NS5tupleIffNS6_9null_typeES8_S8_S8_S8_S8_S8_S8_EENS0_10empty_typeEEEZNS1_21merge_sort_block_sortIS3_NS6_6detail15normal_iteratorINS6_10device_ptrIS9_EEEESH_PSA_SI_NS6_4lessIS9_EEEE10hipError_tT0_T1_T2_T3_mRjT4_P12ihipStream_tbNS1_7vsmem_tEEUlT_E_NS1_11comp_targetILNS1_3genE10ELNS1_11target_archE1200ELNS1_3gpuE4ELNS1_3repE0EEENS1_30default_config_static_selectorELNS0_4arch9wavefront6targetE1EEEvSN_,comdat
.Lfunc_end24:
	.size	_ZN7rocprim17ROCPRIM_400000_NS6detail17trampoline_kernelINS0_14default_configENS1_37merge_sort_block_sort_config_selectorIN6thrust23THRUST_200600_302600_NS5tupleIffNS6_9null_typeES8_S8_S8_S8_S8_S8_S8_EENS0_10empty_typeEEEZNS1_21merge_sort_block_sortIS3_NS6_6detail15normal_iteratorINS6_10device_ptrIS9_EEEESH_PSA_SI_NS6_4lessIS9_EEEE10hipError_tT0_T1_T2_T3_mRjT4_P12ihipStream_tbNS1_7vsmem_tEEUlT_E_NS1_11comp_targetILNS1_3genE10ELNS1_11target_archE1200ELNS1_3gpuE4ELNS1_3repE0EEENS1_30default_config_static_selectorELNS0_4arch9wavefront6targetE1EEEvSN_, .Lfunc_end24-_ZN7rocprim17ROCPRIM_400000_NS6detail17trampoline_kernelINS0_14default_configENS1_37merge_sort_block_sort_config_selectorIN6thrust23THRUST_200600_302600_NS5tupleIffNS6_9null_typeES8_S8_S8_S8_S8_S8_S8_EENS0_10empty_typeEEEZNS1_21merge_sort_block_sortIS3_NS6_6detail15normal_iteratorINS6_10device_ptrIS9_EEEESH_PSA_SI_NS6_4lessIS9_EEEE10hipError_tT0_T1_T2_T3_mRjT4_P12ihipStream_tbNS1_7vsmem_tEEUlT_E_NS1_11comp_targetILNS1_3genE10ELNS1_11target_archE1200ELNS1_3gpuE4ELNS1_3repE0EEENS1_30default_config_static_selectorELNS0_4arch9wavefront6targetE1EEEvSN_
                                        ; -- End function
	.section	.AMDGPU.csdata,"",@progbits
; Kernel info:
; codeLenInByte = 0
; NumSgprs: 6
; NumVgprs: 0
; NumAgprs: 0
; TotalNumVgprs: 0
; ScratchSize: 0
; MemoryBound: 0
; FloatMode: 240
; IeeeMode: 1
; LDSByteSize: 0 bytes/workgroup (compile time only)
; SGPRBlocks: 0
; VGPRBlocks: 0
; NumSGPRsForWavesPerEU: 6
; NumVGPRsForWavesPerEU: 1
; AccumOffset: 4
; Occupancy: 8
; WaveLimiterHint : 0
; COMPUTE_PGM_RSRC2:SCRATCH_EN: 0
; COMPUTE_PGM_RSRC2:USER_SGPR: 2
; COMPUTE_PGM_RSRC2:TRAP_HANDLER: 0
; COMPUTE_PGM_RSRC2:TGID_X_EN: 1
; COMPUTE_PGM_RSRC2:TGID_Y_EN: 0
; COMPUTE_PGM_RSRC2:TGID_Z_EN: 0
; COMPUTE_PGM_RSRC2:TIDIG_COMP_CNT: 0
; COMPUTE_PGM_RSRC3_GFX90A:ACCUM_OFFSET: 0
; COMPUTE_PGM_RSRC3_GFX90A:TG_SPLIT: 0
	.section	.text._ZN7rocprim17ROCPRIM_400000_NS6detail17trampoline_kernelINS0_14default_configENS1_37merge_sort_block_sort_config_selectorIN6thrust23THRUST_200600_302600_NS5tupleIffNS6_9null_typeES8_S8_S8_S8_S8_S8_S8_EENS0_10empty_typeEEEZNS1_21merge_sort_block_sortIS3_NS6_6detail15normal_iteratorINS6_10device_ptrIS9_EEEESH_PSA_SI_NS6_4lessIS9_EEEE10hipError_tT0_T1_T2_T3_mRjT4_P12ihipStream_tbNS1_7vsmem_tEEUlT_E_NS1_11comp_targetILNS1_3genE9ELNS1_11target_archE1100ELNS1_3gpuE3ELNS1_3repE0EEENS1_30default_config_static_selectorELNS0_4arch9wavefront6targetE1EEEvSN_,"axG",@progbits,_ZN7rocprim17ROCPRIM_400000_NS6detail17trampoline_kernelINS0_14default_configENS1_37merge_sort_block_sort_config_selectorIN6thrust23THRUST_200600_302600_NS5tupleIffNS6_9null_typeES8_S8_S8_S8_S8_S8_S8_EENS0_10empty_typeEEEZNS1_21merge_sort_block_sortIS3_NS6_6detail15normal_iteratorINS6_10device_ptrIS9_EEEESH_PSA_SI_NS6_4lessIS9_EEEE10hipError_tT0_T1_T2_T3_mRjT4_P12ihipStream_tbNS1_7vsmem_tEEUlT_E_NS1_11comp_targetILNS1_3genE9ELNS1_11target_archE1100ELNS1_3gpuE3ELNS1_3repE0EEENS1_30default_config_static_selectorELNS0_4arch9wavefront6targetE1EEEvSN_,comdat
	.protected	_ZN7rocprim17ROCPRIM_400000_NS6detail17trampoline_kernelINS0_14default_configENS1_37merge_sort_block_sort_config_selectorIN6thrust23THRUST_200600_302600_NS5tupleIffNS6_9null_typeES8_S8_S8_S8_S8_S8_S8_EENS0_10empty_typeEEEZNS1_21merge_sort_block_sortIS3_NS6_6detail15normal_iteratorINS6_10device_ptrIS9_EEEESH_PSA_SI_NS6_4lessIS9_EEEE10hipError_tT0_T1_T2_T3_mRjT4_P12ihipStream_tbNS1_7vsmem_tEEUlT_E_NS1_11comp_targetILNS1_3genE9ELNS1_11target_archE1100ELNS1_3gpuE3ELNS1_3repE0EEENS1_30default_config_static_selectorELNS0_4arch9wavefront6targetE1EEEvSN_ ; -- Begin function _ZN7rocprim17ROCPRIM_400000_NS6detail17trampoline_kernelINS0_14default_configENS1_37merge_sort_block_sort_config_selectorIN6thrust23THRUST_200600_302600_NS5tupleIffNS6_9null_typeES8_S8_S8_S8_S8_S8_S8_EENS0_10empty_typeEEEZNS1_21merge_sort_block_sortIS3_NS6_6detail15normal_iteratorINS6_10device_ptrIS9_EEEESH_PSA_SI_NS6_4lessIS9_EEEE10hipError_tT0_T1_T2_T3_mRjT4_P12ihipStream_tbNS1_7vsmem_tEEUlT_E_NS1_11comp_targetILNS1_3genE9ELNS1_11target_archE1100ELNS1_3gpuE3ELNS1_3repE0EEENS1_30default_config_static_selectorELNS0_4arch9wavefront6targetE1EEEvSN_
	.globl	_ZN7rocprim17ROCPRIM_400000_NS6detail17trampoline_kernelINS0_14default_configENS1_37merge_sort_block_sort_config_selectorIN6thrust23THRUST_200600_302600_NS5tupleIffNS6_9null_typeES8_S8_S8_S8_S8_S8_S8_EENS0_10empty_typeEEEZNS1_21merge_sort_block_sortIS3_NS6_6detail15normal_iteratorINS6_10device_ptrIS9_EEEESH_PSA_SI_NS6_4lessIS9_EEEE10hipError_tT0_T1_T2_T3_mRjT4_P12ihipStream_tbNS1_7vsmem_tEEUlT_E_NS1_11comp_targetILNS1_3genE9ELNS1_11target_archE1100ELNS1_3gpuE3ELNS1_3repE0EEENS1_30default_config_static_selectorELNS0_4arch9wavefront6targetE1EEEvSN_
	.p2align	8
	.type	_ZN7rocprim17ROCPRIM_400000_NS6detail17trampoline_kernelINS0_14default_configENS1_37merge_sort_block_sort_config_selectorIN6thrust23THRUST_200600_302600_NS5tupleIffNS6_9null_typeES8_S8_S8_S8_S8_S8_S8_EENS0_10empty_typeEEEZNS1_21merge_sort_block_sortIS3_NS6_6detail15normal_iteratorINS6_10device_ptrIS9_EEEESH_PSA_SI_NS6_4lessIS9_EEEE10hipError_tT0_T1_T2_T3_mRjT4_P12ihipStream_tbNS1_7vsmem_tEEUlT_E_NS1_11comp_targetILNS1_3genE9ELNS1_11target_archE1100ELNS1_3gpuE3ELNS1_3repE0EEENS1_30default_config_static_selectorELNS0_4arch9wavefront6targetE1EEEvSN_,@function
_ZN7rocprim17ROCPRIM_400000_NS6detail17trampoline_kernelINS0_14default_configENS1_37merge_sort_block_sort_config_selectorIN6thrust23THRUST_200600_302600_NS5tupleIffNS6_9null_typeES8_S8_S8_S8_S8_S8_S8_EENS0_10empty_typeEEEZNS1_21merge_sort_block_sortIS3_NS6_6detail15normal_iteratorINS6_10device_ptrIS9_EEEESH_PSA_SI_NS6_4lessIS9_EEEE10hipError_tT0_T1_T2_T3_mRjT4_P12ihipStream_tbNS1_7vsmem_tEEUlT_E_NS1_11comp_targetILNS1_3genE9ELNS1_11target_archE1100ELNS1_3gpuE3ELNS1_3repE0EEENS1_30default_config_static_selectorELNS0_4arch9wavefront6targetE1EEEvSN_: ; @_ZN7rocprim17ROCPRIM_400000_NS6detail17trampoline_kernelINS0_14default_configENS1_37merge_sort_block_sort_config_selectorIN6thrust23THRUST_200600_302600_NS5tupleIffNS6_9null_typeES8_S8_S8_S8_S8_S8_S8_EENS0_10empty_typeEEEZNS1_21merge_sort_block_sortIS3_NS6_6detail15normal_iteratorINS6_10device_ptrIS9_EEEESH_PSA_SI_NS6_4lessIS9_EEEE10hipError_tT0_T1_T2_T3_mRjT4_P12ihipStream_tbNS1_7vsmem_tEEUlT_E_NS1_11comp_targetILNS1_3genE9ELNS1_11target_archE1100ELNS1_3gpuE3ELNS1_3repE0EEENS1_30default_config_static_selectorELNS0_4arch9wavefront6targetE1EEEvSN_
; %bb.0:
	.section	.rodata,"a",@progbits
	.p2align	6, 0x0
	.amdhsa_kernel _ZN7rocprim17ROCPRIM_400000_NS6detail17trampoline_kernelINS0_14default_configENS1_37merge_sort_block_sort_config_selectorIN6thrust23THRUST_200600_302600_NS5tupleIffNS6_9null_typeES8_S8_S8_S8_S8_S8_S8_EENS0_10empty_typeEEEZNS1_21merge_sort_block_sortIS3_NS6_6detail15normal_iteratorINS6_10device_ptrIS9_EEEESH_PSA_SI_NS6_4lessIS9_EEEE10hipError_tT0_T1_T2_T3_mRjT4_P12ihipStream_tbNS1_7vsmem_tEEUlT_E_NS1_11comp_targetILNS1_3genE9ELNS1_11target_archE1100ELNS1_3gpuE3ELNS1_3repE0EEENS1_30default_config_static_selectorELNS0_4arch9wavefront6targetE1EEEvSN_
		.amdhsa_group_segment_fixed_size 0
		.amdhsa_private_segment_fixed_size 0
		.amdhsa_kernarg_size 64
		.amdhsa_user_sgpr_count 2
		.amdhsa_user_sgpr_dispatch_ptr 0
		.amdhsa_user_sgpr_queue_ptr 0
		.amdhsa_user_sgpr_kernarg_segment_ptr 1
		.amdhsa_user_sgpr_dispatch_id 0
		.amdhsa_user_sgpr_kernarg_preload_length 0
		.amdhsa_user_sgpr_kernarg_preload_offset 0
		.amdhsa_user_sgpr_private_segment_size 0
		.amdhsa_uses_dynamic_stack 0
		.amdhsa_enable_private_segment 0
		.amdhsa_system_sgpr_workgroup_id_x 1
		.amdhsa_system_sgpr_workgroup_id_y 0
		.amdhsa_system_sgpr_workgroup_id_z 0
		.amdhsa_system_sgpr_workgroup_info 0
		.amdhsa_system_vgpr_workitem_id 0
		.amdhsa_next_free_vgpr 1
		.amdhsa_next_free_sgpr 0
		.amdhsa_accum_offset 4
		.amdhsa_reserve_vcc 0
		.amdhsa_float_round_mode_32 0
		.amdhsa_float_round_mode_16_64 0
		.amdhsa_float_denorm_mode_32 3
		.amdhsa_float_denorm_mode_16_64 3
		.amdhsa_dx10_clamp 1
		.amdhsa_ieee_mode 1
		.amdhsa_fp16_overflow 0
		.amdhsa_tg_split 0
		.amdhsa_exception_fp_ieee_invalid_op 0
		.amdhsa_exception_fp_denorm_src 0
		.amdhsa_exception_fp_ieee_div_zero 0
		.amdhsa_exception_fp_ieee_overflow 0
		.amdhsa_exception_fp_ieee_underflow 0
		.amdhsa_exception_fp_ieee_inexact 0
		.amdhsa_exception_int_div_zero 0
	.end_amdhsa_kernel
	.section	.text._ZN7rocprim17ROCPRIM_400000_NS6detail17trampoline_kernelINS0_14default_configENS1_37merge_sort_block_sort_config_selectorIN6thrust23THRUST_200600_302600_NS5tupleIffNS6_9null_typeES8_S8_S8_S8_S8_S8_S8_EENS0_10empty_typeEEEZNS1_21merge_sort_block_sortIS3_NS6_6detail15normal_iteratorINS6_10device_ptrIS9_EEEESH_PSA_SI_NS6_4lessIS9_EEEE10hipError_tT0_T1_T2_T3_mRjT4_P12ihipStream_tbNS1_7vsmem_tEEUlT_E_NS1_11comp_targetILNS1_3genE9ELNS1_11target_archE1100ELNS1_3gpuE3ELNS1_3repE0EEENS1_30default_config_static_selectorELNS0_4arch9wavefront6targetE1EEEvSN_,"axG",@progbits,_ZN7rocprim17ROCPRIM_400000_NS6detail17trampoline_kernelINS0_14default_configENS1_37merge_sort_block_sort_config_selectorIN6thrust23THRUST_200600_302600_NS5tupleIffNS6_9null_typeES8_S8_S8_S8_S8_S8_S8_EENS0_10empty_typeEEEZNS1_21merge_sort_block_sortIS3_NS6_6detail15normal_iteratorINS6_10device_ptrIS9_EEEESH_PSA_SI_NS6_4lessIS9_EEEE10hipError_tT0_T1_T2_T3_mRjT4_P12ihipStream_tbNS1_7vsmem_tEEUlT_E_NS1_11comp_targetILNS1_3genE9ELNS1_11target_archE1100ELNS1_3gpuE3ELNS1_3repE0EEENS1_30default_config_static_selectorELNS0_4arch9wavefront6targetE1EEEvSN_,comdat
.Lfunc_end25:
	.size	_ZN7rocprim17ROCPRIM_400000_NS6detail17trampoline_kernelINS0_14default_configENS1_37merge_sort_block_sort_config_selectorIN6thrust23THRUST_200600_302600_NS5tupleIffNS6_9null_typeES8_S8_S8_S8_S8_S8_S8_EENS0_10empty_typeEEEZNS1_21merge_sort_block_sortIS3_NS6_6detail15normal_iteratorINS6_10device_ptrIS9_EEEESH_PSA_SI_NS6_4lessIS9_EEEE10hipError_tT0_T1_T2_T3_mRjT4_P12ihipStream_tbNS1_7vsmem_tEEUlT_E_NS1_11comp_targetILNS1_3genE9ELNS1_11target_archE1100ELNS1_3gpuE3ELNS1_3repE0EEENS1_30default_config_static_selectorELNS0_4arch9wavefront6targetE1EEEvSN_, .Lfunc_end25-_ZN7rocprim17ROCPRIM_400000_NS6detail17trampoline_kernelINS0_14default_configENS1_37merge_sort_block_sort_config_selectorIN6thrust23THRUST_200600_302600_NS5tupleIffNS6_9null_typeES8_S8_S8_S8_S8_S8_S8_EENS0_10empty_typeEEEZNS1_21merge_sort_block_sortIS3_NS6_6detail15normal_iteratorINS6_10device_ptrIS9_EEEESH_PSA_SI_NS6_4lessIS9_EEEE10hipError_tT0_T1_T2_T3_mRjT4_P12ihipStream_tbNS1_7vsmem_tEEUlT_E_NS1_11comp_targetILNS1_3genE9ELNS1_11target_archE1100ELNS1_3gpuE3ELNS1_3repE0EEENS1_30default_config_static_selectorELNS0_4arch9wavefront6targetE1EEEvSN_
                                        ; -- End function
	.section	.AMDGPU.csdata,"",@progbits
; Kernel info:
; codeLenInByte = 0
; NumSgprs: 6
; NumVgprs: 0
; NumAgprs: 0
; TotalNumVgprs: 0
; ScratchSize: 0
; MemoryBound: 0
; FloatMode: 240
; IeeeMode: 1
; LDSByteSize: 0 bytes/workgroup (compile time only)
; SGPRBlocks: 0
; VGPRBlocks: 0
; NumSGPRsForWavesPerEU: 6
; NumVGPRsForWavesPerEU: 1
; AccumOffset: 4
; Occupancy: 8
; WaveLimiterHint : 0
; COMPUTE_PGM_RSRC2:SCRATCH_EN: 0
; COMPUTE_PGM_RSRC2:USER_SGPR: 2
; COMPUTE_PGM_RSRC2:TRAP_HANDLER: 0
; COMPUTE_PGM_RSRC2:TGID_X_EN: 1
; COMPUTE_PGM_RSRC2:TGID_Y_EN: 0
; COMPUTE_PGM_RSRC2:TGID_Z_EN: 0
; COMPUTE_PGM_RSRC2:TIDIG_COMP_CNT: 0
; COMPUTE_PGM_RSRC3_GFX90A:ACCUM_OFFSET: 0
; COMPUTE_PGM_RSRC3_GFX90A:TG_SPLIT: 0
	.section	.text._ZN7rocprim17ROCPRIM_400000_NS6detail17trampoline_kernelINS0_14default_configENS1_37merge_sort_block_sort_config_selectorIN6thrust23THRUST_200600_302600_NS5tupleIffNS6_9null_typeES8_S8_S8_S8_S8_S8_S8_EENS0_10empty_typeEEEZNS1_21merge_sort_block_sortIS3_NS6_6detail15normal_iteratorINS6_10device_ptrIS9_EEEESH_PSA_SI_NS6_4lessIS9_EEEE10hipError_tT0_T1_T2_T3_mRjT4_P12ihipStream_tbNS1_7vsmem_tEEUlT_E_NS1_11comp_targetILNS1_3genE8ELNS1_11target_archE1030ELNS1_3gpuE2ELNS1_3repE0EEENS1_30default_config_static_selectorELNS0_4arch9wavefront6targetE1EEEvSN_,"axG",@progbits,_ZN7rocprim17ROCPRIM_400000_NS6detail17trampoline_kernelINS0_14default_configENS1_37merge_sort_block_sort_config_selectorIN6thrust23THRUST_200600_302600_NS5tupleIffNS6_9null_typeES8_S8_S8_S8_S8_S8_S8_EENS0_10empty_typeEEEZNS1_21merge_sort_block_sortIS3_NS6_6detail15normal_iteratorINS6_10device_ptrIS9_EEEESH_PSA_SI_NS6_4lessIS9_EEEE10hipError_tT0_T1_T2_T3_mRjT4_P12ihipStream_tbNS1_7vsmem_tEEUlT_E_NS1_11comp_targetILNS1_3genE8ELNS1_11target_archE1030ELNS1_3gpuE2ELNS1_3repE0EEENS1_30default_config_static_selectorELNS0_4arch9wavefront6targetE1EEEvSN_,comdat
	.protected	_ZN7rocprim17ROCPRIM_400000_NS6detail17trampoline_kernelINS0_14default_configENS1_37merge_sort_block_sort_config_selectorIN6thrust23THRUST_200600_302600_NS5tupleIffNS6_9null_typeES8_S8_S8_S8_S8_S8_S8_EENS0_10empty_typeEEEZNS1_21merge_sort_block_sortIS3_NS6_6detail15normal_iteratorINS6_10device_ptrIS9_EEEESH_PSA_SI_NS6_4lessIS9_EEEE10hipError_tT0_T1_T2_T3_mRjT4_P12ihipStream_tbNS1_7vsmem_tEEUlT_E_NS1_11comp_targetILNS1_3genE8ELNS1_11target_archE1030ELNS1_3gpuE2ELNS1_3repE0EEENS1_30default_config_static_selectorELNS0_4arch9wavefront6targetE1EEEvSN_ ; -- Begin function _ZN7rocprim17ROCPRIM_400000_NS6detail17trampoline_kernelINS0_14default_configENS1_37merge_sort_block_sort_config_selectorIN6thrust23THRUST_200600_302600_NS5tupleIffNS6_9null_typeES8_S8_S8_S8_S8_S8_S8_EENS0_10empty_typeEEEZNS1_21merge_sort_block_sortIS3_NS6_6detail15normal_iteratorINS6_10device_ptrIS9_EEEESH_PSA_SI_NS6_4lessIS9_EEEE10hipError_tT0_T1_T2_T3_mRjT4_P12ihipStream_tbNS1_7vsmem_tEEUlT_E_NS1_11comp_targetILNS1_3genE8ELNS1_11target_archE1030ELNS1_3gpuE2ELNS1_3repE0EEENS1_30default_config_static_selectorELNS0_4arch9wavefront6targetE1EEEvSN_
	.globl	_ZN7rocprim17ROCPRIM_400000_NS6detail17trampoline_kernelINS0_14default_configENS1_37merge_sort_block_sort_config_selectorIN6thrust23THRUST_200600_302600_NS5tupleIffNS6_9null_typeES8_S8_S8_S8_S8_S8_S8_EENS0_10empty_typeEEEZNS1_21merge_sort_block_sortIS3_NS6_6detail15normal_iteratorINS6_10device_ptrIS9_EEEESH_PSA_SI_NS6_4lessIS9_EEEE10hipError_tT0_T1_T2_T3_mRjT4_P12ihipStream_tbNS1_7vsmem_tEEUlT_E_NS1_11comp_targetILNS1_3genE8ELNS1_11target_archE1030ELNS1_3gpuE2ELNS1_3repE0EEENS1_30default_config_static_selectorELNS0_4arch9wavefront6targetE1EEEvSN_
	.p2align	8
	.type	_ZN7rocprim17ROCPRIM_400000_NS6detail17trampoline_kernelINS0_14default_configENS1_37merge_sort_block_sort_config_selectorIN6thrust23THRUST_200600_302600_NS5tupleIffNS6_9null_typeES8_S8_S8_S8_S8_S8_S8_EENS0_10empty_typeEEEZNS1_21merge_sort_block_sortIS3_NS6_6detail15normal_iteratorINS6_10device_ptrIS9_EEEESH_PSA_SI_NS6_4lessIS9_EEEE10hipError_tT0_T1_T2_T3_mRjT4_P12ihipStream_tbNS1_7vsmem_tEEUlT_E_NS1_11comp_targetILNS1_3genE8ELNS1_11target_archE1030ELNS1_3gpuE2ELNS1_3repE0EEENS1_30default_config_static_selectorELNS0_4arch9wavefront6targetE1EEEvSN_,@function
_ZN7rocprim17ROCPRIM_400000_NS6detail17trampoline_kernelINS0_14default_configENS1_37merge_sort_block_sort_config_selectorIN6thrust23THRUST_200600_302600_NS5tupleIffNS6_9null_typeES8_S8_S8_S8_S8_S8_S8_EENS0_10empty_typeEEEZNS1_21merge_sort_block_sortIS3_NS6_6detail15normal_iteratorINS6_10device_ptrIS9_EEEESH_PSA_SI_NS6_4lessIS9_EEEE10hipError_tT0_T1_T2_T3_mRjT4_P12ihipStream_tbNS1_7vsmem_tEEUlT_E_NS1_11comp_targetILNS1_3genE8ELNS1_11target_archE1030ELNS1_3gpuE2ELNS1_3repE0EEENS1_30default_config_static_selectorELNS0_4arch9wavefront6targetE1EEEvSN_: ; @_ZN7rocprim17ROCPRIM_400000_NS6detail17trampoline_kernelINS0_14default_configENS1_37merge_sort_block_sort_config_selectorIN6thrust23THRUST_200600_302600_NS5tupleIffNS6_9null_typeES8_S8_S8_S8_S8_S8_S8_EENS0_10empty_typeEEEZNS1_21merge_sort_block_sortIS3_NS6_6detail15normal_iteratorINS6_10device_ptrIS9_EEEESH_PSA_SI_NS6_4lessIS9_EEEE10hipError_tT0_T1_T2_T3_mRjT4_P12ihipStream_tbNS1_7vsmem_tEEUlT_E_NS1_11comp_targetILNS1_3genE8ELNS1_11target_archE1030ELNS1_3gpuE2ELNS1_3repE0EEENS1_30default_config_static_selectorELNS0_4arch9wavefront6targetE1EEEvSN_
; %bb.0:
	.section	.rodata,"a",@progbits
	.p2align	6, 0x0
	.amdhsa_kernel _ZN7rocprim17ROCPRIM_400000_NS6detail17trampoline_kernelINS0_14default_configENS1_37merge_sort_block_sort_config_selectorIN6thrust23THRUST_200600_302600_NS5tupleIffNS6_9null_typeES8_S8_S8_S8_S8_S8_S8_EENS0_10empty_typeEEEZNS1_21merge_sort_block_sortIS3_NS6_6detail15normal_iteratorINS6_10device_ptrIS9_EEEESH_PSA_SI_NS6_4lessIS9_EEEE10hipError_tT0_T1_T2_T3_mRjT4_P12ihipStream_tbNS1_7vsmem_tEEUlT_E_NS1_11comp_targetILNS1_3genE8ELNS1_11target_archE1030ELNS1_3gpuE2ELNS1_3repE0EEENS1_30default_config_static_selectorELNS0_4arch9wavefront6targetE1EEEvSN_
		.amdhsa_group_segment_fixed_size 0
		.amdhsa_private_segment_fixed_size 0
		.amdhsa_kernarg_size 64
		.amdhsa_user_sgpr_count 2
		.amdhsa_user_sgpr_dispatch_ptr 0
		.amdhsa_user_sgpr_queue_ptr 0
		.amdhsa_user_sgpr_kernarg_segment_ptr 1
		.amdhsa_user_sgpr_dispatch_id 0
		.amdhsa_user_sgpr_kernarg_preload_length 0
		.amdhsa_user_sgpr_kernarg_preload_offset 0
		.amdhsa_user_sgpr_private_segment_size 0
		.amdhsa_uses_dynamic_stack 0
		.amdhsa_enable_private_segment 0
		.amdhsa_system_sgpr_workgroup_id_x 1
		.amdhsa_system_sgpr_workgroup_id_y 0
		.amdhsa_system_sgpr_workgroup_id_z 0
		.amdhsa_system_sgpr_workgroup_info 0
		.amdhsa_system_vgpr_workitem_id 0
		.amdhsa_next_free_vgpr 1
		.amdhsa_next_free_sgpr 0
		.amdhsa_accum_offset 4
		.amdhsa_reserve_vcc 0
		.amdhsa_float_round_mode_32 0
		.amdhsa_float_round_mode_16_64 0
		.amdhsa_float_denorm_mode_32 3
		.amdhsa_float_denorm_mode_16_64 3
		.amdhsa_dx10_clamp 1
		.amdhsa_ieee_mode 1
		.amdhsa_fp16_overflow 0
		.amdhsa_tg_split 0
		.amdhsa_exception_fp_ieee_invalid_op 0
		.amdhsa_exception_fp_denorm_src 0
		.amdhsa_exception_fp_ieee_div_zero 0
		.amdhsa_exception_fp_ieee_overflow 0
		.amdhsa_exception_fp_ieee_underflow 0
		.amdhsa_exception_fp_ieee_inexact 0
		.amdhsa_exception_int_div_zero 0
	.end_amdhsa_kernel
	.section	.text._ZN7rocprim17ROCPRIM_400000_NS6detail17trampoline_kernelINS0_14default_configENS1_37merge_sort_block_sort_config_selectorIN6thrust23THRUST_200600_302600_NS5tupleIffNS6_9null_typeES8_S8_S8_S8_S8_S8_S8_EENS0_10empty_typeEEEZNS1_21merge_sort_block_sortIS3_NS6_6detail15normal_iteratorINS6_10device_ptrIS9_EEEESH_PSA_SI_NS6_4lessIS9_EEEE10hipError_tT0_T1_T2_T3_mRjT4_P12ihipStream_tbNS1_7vsmem_tEEUlT_E_NS1_11comp_targetILNS1_3genE8ELNS1_11target_archE1030ELNS1_3gpuE2ELNS1_3repE0EEENS1_30default_config_static_selectorELNS0_4arch9wavefront6targetE1EEEvSN_,"axG",@progbits,_ZN7rocprim17ROCPRIM_400000_NS6detail17trampoline_kernelINS0_14default_configENS1_37merge_sort_block_sort_config_selectorIN6thrust23THRUST_200600_302600_NS5tupleIffNS6_9null_typeES8_S8_S8_S8_S8_S8_S8_EENS0_10empty_typeEEEZNS1_21merge_sort_block_sortIS3_NS6_6detail15normal_iteratorINS6_10device_ptrIS9_EEEESH_PSA_SI_NS6_4lessIS9_EEEE10hipError_tT0_T1_T2_T3_mRjT4_P12ihipStream_tbNS1_7vsmem_tEEUlT_E_NS1_11comp_targetILNS1_3genE8ELNS1_11target_archE1030ELNS1_3gpuE2ELNS1_3repE0EEENS1_30default_config_static_selectorELNS0_4arch9wavefront6targetE1EEEvSN_,comdat
.Lfunc_end26:
	.size	_ZN7rocprim17ROCPRIM_400000_NS6detail17trampoline_kernelINS0_14default_configENS1_37merge_sort_block_sort_config_selectorIN6thrust23THRUST_200600_302600_NS5tupleIffNS6_9null_typeES8_S8_S8_S8_S8_S8_S8_EENS0_10empty_typeEEEZNS1_21merge_sort_block_sortIS3_NS6_6detail15normal_iteratorINS6_10device_ptrIS9_EEEESH_PSA_SI_NS6_4lessIS9_EEEE10hipError_tT0_T1_T2_T3_mRjT4_P12ihipStream_tbNS1_7vsmem_tEEUlT_E_NS1_11comp_targetILNS1_3genE8ELNS1_11target_archE1030ELNS1_3gpuE2ELNS1_3repE0EEENS1_30default_config_static_selectorELNS0_4arch9wavefront6targetE1EEEvSN_, .Lfunc_end26-_ZN7rocprim17ROCPRIM_400000_NS6detail17trampoline_kernelINS0_14default_configENS1_37merge_sort_block_sort_config_selectorIN6thrust23THRUST_200600_302600_NS5tupleIffNS6_9null_typeES8_S8_S8_S8_S8_S8_S8_EENS0_10empty_typeEEEZNS1_21merge_sort_block_sortIS3_NS6_6detail15normal_iteratorINS6_10device_ptrIS9_EEEESH_PSA_SI_NS6_4lessIS9_EEEE10hipError_tT0_T1_T2_T3_mRjT4_P12ihipStream_tbNS1_7vsmem_tEEUlT_E_NS1_11comp_targetILNS1_3genE8ELNS1_11target_archE1030ELNS1_3gpuE2ELNS1_3repE0EEENS1_30default_config_static_selectorELNS0_4arch9wavefront6targetE1EEEvSN_
                                        ; -- End function
	.section	.AMDGPU.csdata,"",@progbits
; Kernel info:
; codeLenInByte = 0
; NumSgprs: 6
; NumVgprs: 0
; NumAgprs: 0
; TotalNumVgprs: 0
; ScratchSize: 0
; MemoryBound: 0
; FloatMode: 240
; IeeeMode: 1
; LDSByteSize: 0 bytes/workgroup (compile time only)
; SGPRBlocks: 0
; VGPRBlocks: 0
; NumSGPRsForWavesPerEU: 6
; NumVGPRsForWavesPerEU: 1
; AccumOffset: 4
; Occupancy: 8
; WaveLimiterHint : 0
; COMPUTE_PGM_RSRC2:SCRATCH_EN: 0
; COMPUTE_PGM_RSRC2:USER_SGPR: 2
; COMPUTE_PGM_RSRC2:TRAP_HANDLER: 0
; COMPUTE_PGM_RSRC2:TGID_X_EN: 1
; COMPUTE_PGM_RSRC2:TGID_Y_EN: 0
; COMPUTE_PGM_RSRC2:TGID_Z_EN: 0
; COMPUTE_PGM_RSRC2:TIDIG_COMP_CNT: 0
; COMPUTE_PGM_RSRC3_GFX90A:ACCUM_OFFSET: 0
; COMPUTE_PGM_RSRC3_GFX90A:TG_SPLIT: 0
	.section	.text._ZN7rocprim17ROCPRIM_400000_NS6detail17trampoline_kernelINS0_14default_configENS1_38merge_sort_block_merge_config_selectorIN6thrust23THRUST_200600_302600_NS5tupleIffNS6_9null_typeES8_S8_S8_S8_S8_S8_S8_EENS0_10empty_typeEEEZZNS1_27merge_sort_block_merge_implIS3_NS6_6detail15normal_iteratorINS6_10device_ptrIS9_EEEEPSA_mNS6_4lessIS9_EEEE10hipError_tT0_T1_T2_jT3_P12ihipStream_tbPNSt15iterator_traitsISM_E10value_typeEPNSS_ISN_E10value_typeEPSO_NS1_7vsmem_tEENKUlT_SM_SN_SO_E_clIPS9_SH_SI_SI_EESL_S11_SM_SN_SO_EUlS11_E_NS1_11comp_targetILNS1_3genE0ELNS1_11target_archE4294967295ELNS1_3gpuE0ELNS1_3repE0EEENS1_48merge_mergepath_partition_config_static_selectorELNS0_4arch9wavefront6targetE1EEEvSN_,"axG",@progbits,_ZN7rocprim17ROCPRIM_400000_NS6detail17trampoline_kernelINS0_14default_configENS1_38merge_sort_block_merge_config_selectorIN6thrust23THRUST_200600_302600_NS5tupleIffNS6_9null_typeES8_S8_S8_S8_S8_S8_S8_EENS0_10empty_typeEEEZZNS1_27merge_sort_block_merge_implIS3_NS6_6detail15normal_iteratorINS6_10device_ptrIS9_EEEEPSA_mNS6_4lessIS9_EEEE10hipError_tT0_T1_T2_jT3_P12ihipStream_tbPNSt15iterator_traitsISM_E10value_typeEPNSS_ISN_E10value_typeEPSO_NS1_7vsmem_tEENKUlT_SM_SN_SO_E_clIPS9_SH_SI_SI_EESL_S11_SM_SN_SO_EUlS11_E_NS1_11comp_targetILNS1_3genE0ELNS1_11target_archE4294967295ELNS1_3gpuE0ELNS1_3repE0EEENS1_48merge_mergepath_partition_config_static_selectorELNS0_4arch9wavefront6targetE1EEEvSN_,comdat
	.protected	_ZN7rocprim17ROCPRIM_400000_NS6detail17trampoline_kernelINS0_14default_configENS1_38merge_sort_block_merge_config_selectorIN6thrust23THRUST_200600_302600_NS5tupleIffNS6_9null_typeES8_S8_S8_S8_S8_S8_S8_EENS0_10empty_typeEEEZZNS1_27merge_sort_block_merge_implIS3_NS6_6detail15normal_iteratorINS6_10device_ptrIS9_EEEEPSA_mNS6_4lessIS9_EEEE10hipError_tT0_T1_T2_jT3_P12ihipStream_tbPNSt15iterator_traitsISM_E10value_typeEPNSS_ISN_E10value_typeEPSO_NS1_7vsmem_tEENKUlT_SM_SN_SO_E_clIPS9_SH_SI_SI_EESL_S11_SM_SN_SO_EUlS11_E_NS1_11comp_targetILNS1_3genE0ELNS1_11target_archE4294967295ELNS1_3gpuE0ELNS1_3repE0EEENS1_48merge_mergepath_partition_config_static_selectorELNS0_4arch9wavefront6targetE1EEEvSN_ ; -- Begin function _ZN7rocprim17ROCPRIM_400000_NS6detail17trampoline_kernelINS0_14default_configENS1_38merge_sort_block_merge_config_selectorIN6thrust23THRUST_200600_302600_NS5tupleIffNS6_9null_typeES8_S8_S8_S8_S8_S8_S8_EENS0_10empty_typeEEEZZNS1_27merge_sort_block_merge_implIS3_NS6_6detail15normal_iteratorINS6_10device_ptrIS9_EEEEPSA_mNS6_4lessIS9_EEEE10hipError_tT0_T1_T2_jT3_P12ihipStream_tbPNSt15iterator_traitsISM_E10value_typeEPNSS_ISN_E10value_typeEPSO_NS1_7vsmem_tEENKUlT_SM_SN_SO_E_clIPS9_SH_SI_SI_EESL_S11_SM_SN_SO_EUlS11_E_NS1_11comp_targetILNS1_3genE0ELNS1_11target_archE4294967295ELNS1_3gpuE0ELNS1_3repE0EEENS1_48merge_mergepath_partition_config_static_selectorELNS0_4arch9wavefront6targetE1EEEvSN_
	.globl	_ZN7rocprim17ROCPRIM_400000_NS6detail17trampoline_kernelINS0_14default_configENS1_38merge_sort_block_merge_config_selectorIN6thrust23THRUST_200600_302600_NS5tupleIffNS6_9null_typeES8_S8_S8_S8_S8_S8_S8_EENS0_10empty_typeEEEZZNS1_27merge_sort_block_merge_implIS3_NS6_6detail15normal_iteratorINS6_10device_ptrIS9_EEEEPSA_mNS6_4lessIS9_EEEE10hipError_tT0_T1_T2_jT3_P12ihipStream_tbPNSt15iterator_traitsISM_E10value_typeEPNSS_ISN_E10value_typeEPSO_NS1_7vsmem_tEENKUlT_SM_SN_SO_E_clIPS9_SH_SI_SI_EESL_S11_SM_SN_SO_EUlS11_E_NS1_11comp_targetILNS1_3genE0ELNS1_11target_archE4294967295ELNS1_3gpuE0ELNS1_3repE0EEENS1_48merge_mergepath_partition_config_static_selectorELNS0_4arch9wavefront6targetE1EEEvSN_
	.p2align	8
	.type	_ZN7rocprim17ROCPRIM_400000_NS6detail17trampoline_kernelINS0_14default_configENS1_38merge_sort_block_merge_config_selectorIN6thrust23THRUST_200600_302600_NS5tupleIffNS6_9null_typeES8_S8_S8_S8_S8_S8_S8_EENS0_10empty_typeEEEZZNS1_27merge_sort_block_merge_implIS3_NS6_6detail15normal_iteratorINS6_10device_ptrIS9_EEEEPSA_mNS6_4lessIS9_EEEE10hipError_tT0_T1_T2_jT3_P12ihipStream_tbPNSt15iterator_traitsISM_E10value_typeEPNSS_ISN_E10value_typeEPSO_NS1_7vsmem_tEENKUlT_SM_SN_SO_E_clIPS9_SH_SI_SI_EESL_S11_SM_SN_SO_EUlS11_E_NS1_11comp_targetILNS1_3genE0ELNS1_11target_archE4294967295ELNS1_3gpuE0ELNS1_3repE0EEENS1_48merge_mergepath_partition_config_static_selectorELNS0_4arch9wavefront6targetE1EEEvSN_,@function
_ZN7rocprim17ROCPRIM_400000_NS6detail17trampoline_kernelINS0_14default_configENS1_38merge_sort_block_merge_config_selectorIN6thrust23THRUST_200600_302600_NS5tupleIffNS6_9null_typeES8_S8_S8_S8_S8_S8_S8_EENS0_10empty_typeEEEZZNS1_27merge_sort_block_merge_implIS3_NS6_6detail15normal_iteratorINS6_10device_ptrIS9_EEEEPSA_mNS6_4lessIS9_EEEE10hipError_tT0_T1_T2_jT3_P12ihipStream_tbPNSt15iterator_traitsISM_E10value_typeEPNSS_ISN_E10value_typeEPSO_NS1_7vsmem_tEENKUlT_SM_SN_SO_E_clIPS9_SH_SI_SI_EESL_S11_SM_SN_SO_EUlS11_E_NS1_11comp_targetILNS1_3genE0ELNS1_11target_archE4294967295ELNS1_3gpuE0ELNS1_3repE0EEENS1_48merge_mergepath_partition_config_static_selectorELNS0_4arch9wavefront6targetE1EEEvSN_: ; @_ZN7rocprim17ROCPRIM_400000_NS6detail17trampoline_kernelINS0_14default_configENS1_38merge_sort_block_merge_config_selectorIN6thrust23THRUST_200600_302600_NS5tupleIffNS6_9null_typeES8_S8_S8_S8_S8_S8_S8_EENS0_10empty_typeEEEZZNS1_27merge_sort_block_merge_implIS3_NS6_6detail15normal_iteratorINS6_10device_ptrIS9_EEEEPSA_mNS6_4lessIS9_EEEE10hipError_tT0_T1_T2_jT3_P12ihipStream_tbPNSt15iterator_traitsISM_E10value_typeEPNSS_ISN_E10value_typeEPSO_NS1_7vsmem_tEENKUlT_SM_SN_SO_E_clIPS9_SH_SI_SI_EESL_S11_SM_SN_SO_EUlS11_E_NS1_11comp_targetILNS1_3genE0ELNS1_11target_archE4294967295ELNS1_3gpuE0ELNS1_3repE0EEENS1_48merge_mergepath_partition_config_static_selectorELNS0_4arch9wavefront6targetE1EEEvSN_
; %bb.0:
	.section	.rodata,"a",@progbits
	.p2align	6, 0x0
	.amdhsa_kernel _ZN7rocprim17ROCPRIM_400000_NS6detail17trampoline_kernelINS0_14default_configENS1_38merge_sort_block_merge_config_selectorIN6thrust23THRUST_200600_302600_NS5tupleIffNS6_9null_typeES8_S8_S8_S8_S8_S8_S8_EENS0_10empty_typeEEEZZNS1_27merge_sort_block_merge_implIS3_NS6_6detail15normal_iteratorINS6_10device_ptrIS9_EEEEPSA_mNS6_4lessIS9_EEEE10hipError_tT0_T1_T2_jT3_P12ihipStream_tbPNSt15iterator_traitsISM_E10value_typeEPNSS_ISN_E10value_typeEPSO_NS1_7vsmem_tEENKUlT_SM_SN_SO_E_clIPS9_SH_SI_SI_EESL_S11_SM_SN_SO_EUlS11_E_NS1_11comp_targetILNS1_3genE0ELNS1_11target_archE4294967295ELNS1_3gpuE0ELNS1_3repE0EEENS1_48merge_mergepath_partition_config_static_selectorELNS0_4arch9wavefront6targetE1EEEvSN_
		.amdhsa_group_segment_fixed_size 0
		.amdhsa_private_segment_fixed_size 0
		.amdhsa_kernarg_size 48
		.amdhsa_user_sgpr_count 2
		.amdhsa_user_sgpr_dispatch_ptr 0
		.amdhsa_user_sgpr_queue_ptr 0
		.amdhsa_user_sgpr_kernarg_segment_ptr 1
		.amdhsa_user_sgpr_dispatch_id 0
		.amdhsa_user_sgpr_kernarg_preload_length 0
		.amdhsa_user_sgpr_kernarg_preload_offset 0
		.amdhsa_user_sgpr_private_segment_size 0
		.amdhsa_uses_dynamic_stack 0
		.amdhsa_enable_private_segment 0
		.amdhsa_system_sgpr_workgroup_id_x 1
		.amdhsa_system_sgpr_workgroup_id_y 0
		.amdhsa_system_sgpr_workgroup_id_z 0
		.amdhsa_system_sgpr_workgroup_info 0
		.amdhsa_system_vgpr_workitem_id 0
		.amdhsa_next_free_vgpr 1
		.amdhsa_next_free_sgpr 0
		.amdhsa_accum_offset 4
		.amdhsa_reserve_vcc 0
		.amdhsa_float_round_mode_32 0
		.amdhsa_float_round_mode_16_64 0
		.amdhsa_float_denorm_mode_32 3
		.amdhsa_float_denorm_mode_16_64 3
		.amdhsa_dx10_clamp 1
		.amdhsa_ieee_mode 1
		.amdhsa_fp16_overflow 0
		.amdhsa_tg_split 0
		.amdhsa_exception_fp_ieee_invalid_op 0
		.amdhsa_exception_fp_denorm_src 0
		.amdhsa_exception_fp_ieee_div_zero 0
		.amdhsa_exception_fp_ieee_overflow 0
		.amdhsa_exception_fp_ieee_underflow 0
		.amdhsa_exception_fp_ieee_inexact 0
		.amdhsa_exception_int_div_zero 0
	.end_amdhsa_kernel
	.section	.text._ZN7rocprim17ROCPRIM_400000_NS6detail17trampoline_kernelINS0_14default_configENS1_38merge_sort_block_merge_config_selectorIN6thrust23THRUST_200600_302600_NS5tupleIffNS6_9null_typeES8_S8_S8_S8_S8_S8_S8_EENS0_10empty_typeEEEZZNS1_27merge_sort_block_merge_implIS3_NS6_6detail15normal_iteratorINS6_10device_ptrIS9_EEEEPSA_mNS6_4lessIS9_EEEE10hipError_tT0_T1_T2_jT3_P12ihipStream_tbPNSt15iterator_traitsISM_E10value_typeEPNSS_ISN_E10value_typeEPSO_NS1_7vsmem_tEENKUlT_SM_SN_SO_E_clIPS9_SH_SI_SI_EESL_S11_SM_SN_SO_EUlS11_E_NS1_11comp_targetILNS1_3genE0ELNS1_11target_archE4294967295ELNS1_3gpuE0ELNS1_3repE0EEENS1_48merge_mergepath_partition_config_static_selectorELNS0_4arch9wavefront6targetE1EEEvSN_,"axG",@progbits,_ZN7rocprim17ROCPRIM_400000_NS6detail17trampoline_kernelINS0_14default_configENS1_38merge_sort_block_merge_config_selectorIN6thrust23THRUST_200600_302600_NS5tupleIffNS6_9null_typeES8_S8_S8_S8_S8_S8_S8_EENS0_10empty_typeEEEZZNS1_27merge_sort_block_merge_implIS3_NS6_6detail15normal_iteratorINS6_10device_ptrIS9_EEEEPSA_mNS6_4lessIS9_EEEE10hipError_tT0_T1_T2_jT3_P12ihipStream_tbPNSt15iterator_traitsISM_E10value_typeEPNSS_ISN_E10value_typeEPSO_NS1_7vsmem_tEENKUlT_SM_SN_SO_E_clIPS9_SH_SI_SI_EESL_S11_SM_SN_SO_EUlS11_E_NS1_11comp_targetILNS1_3genE0ELNS1_11target_archE4294967295ELNS1_3gpuE0ELNS1_3repE0EEENS1_48merge_mergepath_partition_config_static_selectorELNS0_4arch9wavefront6targetE1EEEvSN_,comdat
.Lfunc_end27:
	.size	_ZN7rocprim17ROCPRIM_400000_NS6detail17trampoline_kernelINS0_14default_configENS1_38merge_sort_block_merge_config_selectorIN6thrust23THRUST_200600_302600_NS5tupleIffNS6_9null_typeES8_S8_S8_S8_S8_S8_S8_EENS0_10empty_typeEEEZZNS1_27merge_sort_block_merge_implIS3_NS6_6detail15normal_iteratorINS6_10device_ptrIS9_EEEEPSA_mNS6_4lessIS9_EEEE10hipError_tT0_T1_T2_jT3_P12ihipStream_tbPNSt15iterator_traitsISM_E10value_typeEPNSS_ISN_E10value_typeEPSO_NS1_7vsmem_tEENKUlT_SM_SN_SO_E_clIPS9_SH_SI_SI_EESL_S11_SM_SN_SO_EUlS11_E_NS1_11comp_targetILNS1_3genE0ELNS1_11target_archE4294967295ELNS1_3gpuE0ELNS1_3repE0EEENS1_48merge_mergepath_partition_config_static_selectorELNS0_4arch9wavefront6targetE1EEEvSN_, .Lfunc_end27-_ZN7rocprim17ROCPRIM_400000_NS6detail17trampoline_kernelINS0_14default_configENS1_38merge_sort_block_merge_config_selectorIN6thrust23THRUST_200600_302600_NS5tupleIffNS6_9null_typeES8_S8_S8_S8_S8_S8_S8_EENS0_10empty_typeEEEZZNS1_27merge_sort_block_merge_implIS3_NS6_6detail15normal_iteratorINS6_10device_ptrIS9_EEEEPSA_mNS6_4lessIS9_EEEE10hipError_tT0_T1_T2_jT3_P12ihipStream_tbPNSt15iterator_traitsISM_E10value_typeEPNSS_ISN_E10value_typeEPSO_NS1_7vsmem_tEENKUlT_SM_SN_SO_E_clIPS9_SH_SI_SI_EESL_S11_SM_SN_SO_EUlS11_E_NS1_11comp_targetILNS1_3genE0ELNS1_11target_archE4294967295ELNS1_3gpuE0ELNS1_3repE0EEENS1_48merge_mergepath_partition_config_static_selectorELNS0_4arch9wavefront6targetE1EEEvSN_
                                        ; -- End function
	.section	.AMDGPU.csdata,"",@progbits
; Kernel info:
; codeLenInByte = 0
; NumSgprs: 6
; NumVgprs: 0
; NumAgprs: 0
; TotalNumVgprs: 0
; ScratchSize: 0
; MemoryBound: 0
; FloatMode: 240
; IeeeMode: 1
; LDSByteSize: 0 bytes/workgroup (compile time only)
; SGPRBlocks: 0
; VGPRBlocks: 0
; NumSGPRsForWavesPerEU: 6
; NumVGPRsForWavesPerEU: 1
; AccumOffset: 4
; Occupancy: 8
; WaveLimiterHint : 0
; COMPUTE_PGM_RSRC2:SCRATCH_EN: 0
; COMPUTE_PGM_RSRC2:USER_SGPR: 2
; COMPUTE_PGM_RSRC2:TRAP_HANDLER: 0
; COMPUTE_PGM_RSRC2:TGID_X_EN: 1
; COMPUTE_PGM_RSRC2:TGID_Y_EN: 0
; COMPUTE_PGM_RSRC2:TGID_Z_EN: 0
; COMPUTE_PGM_RSRC2:TIDIG_COMP_CNT: 0
; COMPUTE_PGM_RSRC3_GFX90A:ACCUM_OFFSET: 0
; COMPUTE_PGM_RSRC3_GFX90A:TG_SPLIT: 0
	.section	.text._ZN7rocprim17ROCPRIM_400000_NS6detail17trampoline_kernelINS0_14default_configENS1_38merge_sort_block_merge_config_selectorIN6thrust23THRUST_200600_302600_NS5tupleIffNS6_9null_typeES8_S8_S8_S8_S8_S8_S8_EENS0_10empty_typeEEEZZNS1_27merge_sort_block_merge_implIS3_NS6_6detail15normal_iteratorINS6_10device_ptrIS9_EEEEPSA_mNS6_4lessIS9_EEEE10hipError_tT0_T1_T2_jT3_P12ihipStream_tbPNSt15iterator_traitsISM_E10value_typeEPNSS_ISN_E10value_typeEPSO_NS1_7vsmem_tEENKUlT_SM_SN_SO_E_clIPS9_SH_SI_SI_EESL_S11_SM_SN_SO_EUlS11_E_NS1_11comp_targetILNS1_3genE10ELNS1_11target_archE1201ELNS1_3gpuE5ELNS1_3repE0EEENS1_48merge_mergepath_partition_config_static_selectorELNS0_4arch9wavefront6targetE1EEEvSN_,"axG",@progbits,_ZN7rocprim17ROCPRIM_400000_NS6detail17trampoline_kernelINS0_14default_configENS1_38merge_sort_block_merge_config_selectorIN6thrust23THRUST_200600_302600_NS5tupleIffNS6_9null_typeES8_S8_S8_S8_S8_S8_S8_EENS0_10empty_typeEEEZZNS1_27merge_sort_block_merge_implIS3_NS6_6detail15normal_iteratorINS6_10device_ptrIS9_EEEEPSA_mNS6_4lessIS9_EEEE10hipError_tT0_T1_T2_jT3_P12ihipStream_tbPNSt15iterator_traitsISM_E10value_typeEPNSS_ISN_E10value_typeEPSO_NS1_7vsmem_tEENKUlT_SM_SN_SO_E_clIPS9_SH_SI_SI_EESL_S11_SM_SN_SO_EUlS11_E_NS1_11comp_targetILNS1_3genE10ELNS1_11target_archE1201ELNS1_3gpuE5ELNS1_3repE0EEENS1_48merge_mergepath_partition_config_static_selectorELNS0_4arch9wavefront6targetE1EEEvSN_,comdat
	.protected	_ZN7rocprim17ROCPRIM_400000_NS6detail17trampoline_kernelINS0_14default_configENS1_38merge_sort_block_merge_config_selectorIN6thrust23THRUST_200600_302600_NS5tupleIffNS6_9null_typeES8_S8_S8_S8_S8_S8_S8_EENS0_10empty_typeEEEZZNS1_27merge_sort_block_merge_implIS3_NS6_6detail15normal_iteratorINS6_10device_ptrIS9_EEEEPSA_mNS6_4lessIS9_EEEE10hipError_tT0_T1_T2_jT3_P12ihipStream_tbPNSt15iterator_traitsISM_E10value_typeEPNSS_ISN_E10value_typeEPSO_NS1_7vsmem_tEENKUlT_SM_SN_SO_E_clIPS9_SH_SI_SI_EESL_S11_SM_SN_SO_EUlS11_E_NS1_11comp_targetILNS1_3genE10ELNS1_11target_archE1201ELNS1_3gpuE5ELNS1_3repE0EEENS1_48merge_mergepath_partition_config_static_selectorELNS0_4arch9wavefront6targetE1EEEvSN_ ; -- Begin function _ZN7rocprim17ROCPRIM_400000_NS6detail17trampoline_kernelINS0_14default_configENS1_38merge_sort_block_merge_config_selectorIN6thrust23THRUST_200600_302600_NS5tupleIffNS6_9null_typeES8_S8_S8_S8_S8_S8_S8_EENS0_10empty_typeEEEZZNS1_27merge_sort_block_merge_implIS3_NS6_6detail15normal_iteratorINS6_10device_ptrIS9_EEEEPSA_mNS6_4lessIS9_EEEE10hipError_tT0_T1_T2_jT3_P12ihipStream_tbPNSt15iterator_traitsISM_E10value_typeEPNSS_ISN_E10value_typeEPSO_NS1_7vsmem_tEENKUlT_SM_SN_SO_E_clIPS9_SH_SI_SI_EESL_S11_SM_SN_SO_EUlS11_E_NS1_11comp_targetILNS1_3genE10ELNS1_11target_archE1201ELNS1_3gpuE5ELNS1_3repE0EEENS1_48merge_mergepath_partition_config_static_selectorELNS0_4arch9wavefront6targetE1EEEvSN_
	.globl	_ZN7rocprim17ROCPRIM_400000_NS6detail17trampoline_kernelINS0_14default_configENS1_38merge_sort_block_merge_config_selectorIN6thrust23THRUST_200600_302600_NS5tupleIffNS6_9null_typeES8_S8_S8_S8_S8_S8_S8_EENS0_10empty_typeEEEZZNS1_27merge_sort_block_merge_implIS3_NS6_6detail15normal_iteratorINS6_10device_ptrIS9_EEEEPSA_mNS6_4lessIS9_EEEE10hipError_tT0_T1_T2_jT3_P12ihipStream_tbPNSt15iterator_traitsISM_E10value_typeEPNSS_ISN_E10value_typeEPSO_NS1_7vsmem_tEENKUlT_SM_SN_SO_E_clIPS9_SH_SI_SI_EESL_S11_SM_SN_SO_EUlS11_E_NS1_11comp_targetILNS1_3genE10ELNS1_11target_archE1201ELNS1_3gpuE5ELNS1_3repE0EEENS1_48merge_mergepath_partition_config_static_selectorELNS0_4arch9wavefront6targetE1EEEvSN_
	.p2align	8
	.type	_ZN7rocprim17ROCPRIM_400000_NS6detail17trampoline_kernelINS0_14default_configENS1_38merge_sort_block_merge_config_selectorIN6thrust23THRUST_200600_302600_NS5tupleIffNS6_9null_typeES8_S8_S8_S8_S8_S8_S8_EENS0_10empty_typeEEEZZNS1_27merge_sort_block_merge_implIS3_NS6_6detail15normal_iteratorINS6_10device_ptrIS9_EEEEPSA_mNS6_4lessIS9_EEEE10hipError_tT0_T1_T2_jT3_P12ihipStream_tbPNSt15iterator_traitsISM_E10value_typeEPNSS_ISN_E10value_typeEPSO_NS1_7vsmem_tEENKUlT_SM_SN_SO_E_clIPS9_SH_SI_SI_EESL_S11_SM_SN_SO_EUlS11_E_NS1_11comp_targetILNS1_3genE10ELNS1_11target_archE1201ELNS1_3gpuE5ELNS1_3repE0EEENS1_48merge_mergepath_partition_config_static_selectorELNS0_4arch9wavefront6targetE1EEEvSN_,@function
_ZN7rocprim17ROCPRIM_400000_NS6detail17trampoline_kernelINS0_14default_configENS1_38merge_sort_block_merge_config_selectorIN6thrust23THRUST_200600_302600_NS5tupleIffNS6_9null_typeES8_S8_S8_S8_S8_S8_S8_EENS0_10empty_typeEEEZZNS1_27merge_sort_block_merge_implIS3_NS6_6detail15normal_iteratorINS6_10device_ptrIS9_EEEEPSA_mNS6_4lessIS9_EEEE10hipError_tT0_T1_T2_jT3_P12ihipStream_tbPNSt15iterator_traitsISM_E10value_typeEPNSS_ISN_E10value_typeEPSO_NS1_7vsmem_tEENKUlT_SM_SN_SO_E_clIPS9_SH_SI_SI_EESL_S11_SM_SN_SO_EUlS11_E_NS1_11comp_targetILNS1_3genE10ELNS1_11target_archE1201ELNS1_3gpuE5ELNS1_3repE0EEENS1_48merge_mergepath_partition_config_static_selectorELNS0_4arch9wavefront6targetE1EEEvSN_: ; @_ZN7rocprim17ROCPRIM_400000_NS6detail17trampoline_kernelINS0_14default_configENS1_38merge_sort_block_merge_config_selectorIN6thrust23THRUST_200600_302600_NS5tupleIffNS6_9null_typeES8_S8_S8_S8_S8_S8_S8_EENS0_10empty_typeEEEZZNS1_27merge_sort_block_merge_implIS3_NS6_6detail15normal_iteratorINS6_10device_ptrIS9_EEEEPSA_mNS6_4lessIS9_EEEE10hipError_tT0_T1_T2_jT3_P12ihipStream_tbPNSt15iterator_traitsISM_E10value_typeEPNSS_ISN_E10value_typeEPSO_NS1_7vsmem_tEENKUlT_SM_SN_SO_E_clIPS9_SH_SI_SI_EESL_S11_SM_SN_SO_EUlS11_E_NS1_11comp_targetILNS1_3genE10ELNS1_11target_archE1201ELNS1_3gpuE5ELNS1_3repE0EEENS1_48merge_mergepath_partition_config_static_selectorELNS0_4arch9wavefront6targetE1EEEvSN_
; %bb.0:
	.section	.rodata,"a",@progbits
	.p2align	6, 0x0
	.amdhsa_kernel _ZN7rocprim17ROCPRIM_400000_NS6detail17trampoline_kernelINS0_14default_configENS1_38merge_sort_block_merge_config_selectorIN6thrust23THRUST_200600_302600_NS5tupleIffNS6_9null_typeES8_S8_S8_S8_S8_S8_S8_EENS0_10empty_typeEEEZZNS1_27merge_sort_block_merge_implIS3_NS6_6detail15normal_iteratorINS6_10device_ptrIS9_EEEEPSA_mNS6_4lessIS9_EEEE10hipError_tT0_T1_T2_jT3_P12ihipStream_tbPNSt15iterator_traitsISM_E10value_typeEPNSS_ISN_E10value_typeEPSO_NS1_7vsmem_tEENKUlT_SM_SN_SO_E_clIPS9_SH_SI_SI_EESL_S11_SM_SN_SO_EUlS11_E_NS1_11comp_targetILNS1_3genE10ELNS1_11target_archE1201ELNS1_3gpuE5ELNS1_3repE0EEENS1_48merge_mergepath_partition_config_static_selectorELNS0_4arch9wavefront6targetE1EEEvSN_
		.amdhsa_group_segment_fixed_size 0
		.amdhsa_private_segment_fixed_size 0
		.amdhsa_kernarg_size 48
		.amdhsa_user_sgpr_count 2
		.amdhsa_user_sgpr_dispatch_ptr 0
		.amdhsa_user_sgpr_queue_ptr 0
		.amdhsa_user_sgpr_kernarg_segment_ptr 1
		.amdhsa_user_sgpr_dispatch_id 0
		.amdhsa_user_sgpr_kernarg_preload_length 0
		.amdhsa_user_sgpr_kernarg_preload_offset 0
		.amdhsa_user_sgpr_private_segment_size 0
		.amdhsa_uses_dynamic_stack 0
		.amdhsa_enable_private_segment 0
		.amdhsa_system_sgpr_workgroup_id_x 1
		.amdhsa_system_sgpr_workgroup_id_y 0
		.amdhsa_system_sgpr_workgroup_id_z 0
		.amdhsa_system_sgpr_workgroup_info 0
		.amdhsa_system_vgpr_workitem_id 0
		.amdhsa_next_free_vgpr 1
		.amdhsa_next_free_sgpr 0
		.amdhsa_accum_offset 4
		.amdhsa_reserve_vcc 0
		.amdhsa_float_round_mode_32 0
		.amdhsa_float_round_mode_16_64 0
		.amdhsa_float_denorm_mode_32 3
		.amdhsa_float_denorm_mode_16_64 3
		.amdhsa_dx10_clamp 1
		.amdhsa_ieee_mode 1
		.amdhsa_fp16_overflow 0
		.amdhsa_tg_split 0
		.amdhsa_exception_fp_ieee_invalid_op 0
		.amdhsa_exception_fp_denorm_src 0
		.amdhsa_exception_fp_ieee_div_zero 0
		.amdhsa_exception_fp_ieee_overflow 0
		.amdhsa_exception_fp_ieee_underflow 0
		.amdhsa_exception_fp_ieee_inexact 0
		.amdhsa_exception_int_div_zero 0
	.end_amdhsa_kernel
	.section	.text._ZN7rocprim17ROCPRIM_400000_NS6detail17trampoline_kernelINS0_14default_configENS1_38merge_sort_block_merge_config_selectorIN6thrust23THRUST_200600_302600_NS5tupleIffNS6_9null_typeES8_S8_S8_S8_S8_S8_S8_EENS0_10empty_typeEEEZZNS1_27merge_sort_block_merge_implIS3_NS6_6detail15normal_iteratorINS6_10device_ptrIS9_EEEEPSA_mNS6_4lessIS9_EEEE10hipError_tT0_T1_T2_jT3_P12ihipStream_tbPNSt15iterator_traitsISM_E10value_typeEPNSS_ISN_E10value_typeEPSO_NS1_7vsmem_tEENKUlT_SM_SN_SO_E_clIPS9_SH_SI_SI_EESL_S11_SM_SN_SO_EUlS11_E_NS1_11comp_targetILNS1_3genE10ELNS1_11target_archE1201ELNS1_3gpuE5ELNS1_3repE0EEENS1_48merge_mergepath_partition_config_static_selectorELNS0_4arch9wavefront6targetE1EEEvSN_,"axG",@progbits,_ZN7rocprim17ROCPRIM_400000_NS6detail17trampoline_kernelINS0_14default_configENS1_38merge_sort_block_merge_config_selectorIN6thrust23THRUST_200600_302600_NS5tupleIffNS6_9null_typeES8_S8_S8_S8_S8_S8_S8_EENS0_10empty_typeEEEZZNS1_27merge_sort_block_merge_implIS3_NS6_6detail15normal_iteratorINS6_10device_ptrIS9_EEEEPSA_mNS6_4lessIS9_EEEE10hipError_tT0_T1_T2_jT3_P12ihipStream_tbPNSt15iterator_traitsISM_E10value_typeEPNSS_ISN_E10value_typeEPSO_NS1_7vsmem_tEENKUlT_SM_SN_SO_E_clIPS9_SH_SI_SI_EESL_S11_SM_SN_SO_EUlS11_E_NS1_11comp_targetILNS1_3genE10ELNS1_11target_archE1201ELNS1_3gpuE5ELNS1_3repE0EEENS1_48merge_mergepath_partition_config_static_selectorELNS0_4arch9wavefront6targetE1EEEvSN_,comdat
.Lfunc_end28:
	.size	_ZN7rocprim17ROCPRIM_400000_NS6detail17trampoline_kernelINS0_14default_configENS1_38merge_sort_block_merge_config_selectorIN6thrust23THRUST_200600_302600_NS5tupleIffNS6_9null_typeES8_S8_S8_S8_S8_S8_S8_EENS0_10empty_typeEEEZZNS1_27merge_sort_block_merge_implIS3_NS6_6detail15normal_iteratorINS6_10device_ptrIS9_EEEEPSA_mNS6_4lessIS9_EEEE10hipError_tT0_T1_T2_jT3_P12ihipStream_tbPNSt15iterator_traitsISM_E10value_typeEPNSS_ISN_E10value_typeEPSO_NS1_7vsmem_tEENKUlT_SM_SN_SO_E_clIPS9_SH_SI_SI_EESL_S11_SM_SN_SO_EUlS11_E_NS1_11comp_targetILNS1_3genE10ELNS1_11target_archE1201ELNS1_3gpuE5ELNS1_3repE0EEENS1_48merge_mergepath_partition_config_static_selectorELNS0_4arch9wavefront6targetE1EEEvSN_, .Lfunc_end28-_ZN7rocprim17ROCPRIM_400000_NS6detail17trampoline_kernelINS0_14default_configENS1_38merge_sort_block_merge_config_selectorIN6thrust23THRUST_200600_302600_NS5tupleIffNS6_9null_typeES8_S8_S8_S8_S8_S8_S8_EENS0_10empty_typeEEEZZNS1_27merge_sort_block_merge_implIS3_NS6_6detail15normal_iteratorINS6_10device_ptrIS9_EEEEPSA_mNS6_4lessIS9_EEEE10hipError_tT0_T1_T2_jT3_P12ihipStream_tbPNSt15iterator_traitsISM_E10value_typeEPNSS_ISN_E10value_typeEPSO_NS1_7vsmem_tEENKUlT_SM_SN_SO_E_clIPS9_SH_SI_SI_EESL_S11_SM_SN_SO_EUlS11_E_NS1_11comp_targetILNS1_3genE10ELNS1_11target_archE1201ELNS1_3gpuE5ELNS1_3repE0EEENS1_48merge_mergepath_partition_config_static_selectorELNS0_4arch9wavefront6targetE1EEEvSN_
                                        ; -- End function
	.section	.AMDGPU.csdata,"",@progbits
; Kernel info:
; codeLenInByte = 0
; NumSgprs: 6
; NumVgprs: 0
; NumAgprs: 0
; TotalNumVgprs: 0
; ScratchSize: 0
; MemoryBound: 0
; FloatMode: 240
; IeeeMode: 1
; LDSByteSize: 0 bytes/workgroup (compile time only)
; SGPRBlocks: 0
; VGPRBlocks: 0
; NumSGPRsForWavesPerEU: 6
; NumVGPRsForWavesPerEU: 1
; AccumOffset: 4
; Occupancy: 8
; WaveLimiterHint : 0
; COMPUTE_PGM_RSRC2:SCRATCH_EN: 0
; COMPUTE_PGM_RSRC2:USER_SGPR: 2
; COMPUTE_PGM_RSRC2:TRAP_HANDLER: 0
; COMPUTE_PGM_RSRC2:TGID_X_EN: 1
; COMPUTE_PGM_RSRC2:TGID_Y_EN: 0
; COMPUTE_PGM_RSRC2:TGID_Z_EN: 0
; COMPUTE_PGM_RSRC2:TIDIG_COMP_CNT: 0
; COMPUTE_PGM_RSRC3_GFX90A:ACCUM_OFFSET: 0
; COMPUTE_PGM_RSRC3_GFX90A:TG_SPLIT: 0
	.section	.text._ZN7rocprim17ROCPRIM_400000_NS6detail17trampoline_kernelINS0_14default_configENS1_38merge_sort_block_merge_config_selectorIN6thrust23THRUST_200600_302600_NS5tupleIffNS6_9null_typeES8_S8_S8_S8_S8_S8_S8_EENS0_10empty_typeEEEZZNS1_27merge_sort_block_merge_implIS3_NS6_6detail15normal_iteratorINS6_10device_ptrIS9_EEEEPSA_mNS6_4lessIS9_EEEE10hipError_tT0_T1_T2_jT3_P12ihipStream_tbPNSt15iterator_traitsISM_E10value_typeEPNSS_ISN_E10value_typeEPSO_NS1_7vsmem_tEENKUlT_SM_SN_SO_E_clIPS9_SH_SI_SI_EESL_S11_SM_SN_SO_EUlS11_E_NS1_11comp_targetILNS1_3genE5ELNS1_11target_archE942ELNS1_3gpuE9ELNS1_3repE0EEENS1_48merge_mergepath_partition_config_static_selectorELNS0_4arch9wavefront6targetE1EEEvSN_,"axG",@progbits,_ZN7rocprim17ROCPRIM_400000_NS6detail17trampoline_kernelINS0_14default_configENS1_38merge_sort_block_merge_config_selectorIN6thrust23THRUST_200600_302600_NS5tupleIffNS6_9null_typeES8_S8_S8_S8_S8_S8_S8_EENS0_10empty_typeEEEZZNS1_27merge_sort_block_merge_implIS3_NS6_6detail15normal_iteratorINS6_10device_ptrIS9_EEEEPSA_mNS6_4lessIS9_EEEE10hipError_tT0_T1_T2_jT3_P12ihipStream_tbPNSt15iterator_traitsISM_E10value_typeEPNSS_ISN_E10value_typeEPSO_NS1_7vsmem_tEENKUlT_SM_SN_SO_E_clIPS9_SH_SI_SI_EESL_S11_SM_SN_SO_EUlS11_E_NS1_11comp_targetILNS1_3genE5ELNS1_11target_archE942ELNS1_3gpuE9ELNS1_3repE0EEENS1_48merge_mergepath_partition_config_static_selectorELNS0_4arch9wavefront6targetE1EEEvSN_,comdat
	.protected	_ZN7rocprim17ROCPRIM_400000_NS6detail17trampoline_kernelINS0_14default_configENS1_38merge_sort_block_merge_config_selectorIN6thrust23THRUST_200600_302600_NS5tupleIffNS6_9null_typeES8_S8_S8_S8_S8_S8_S8_EENS0_10empty_typeEEEZZNS1_27merge_sort_block_merge_implIS3_NS6_6detail15normal_iteratorINS6_10device_ptrIS9_EEEEPSA_mNS6_4lessIS9_EEEE10hipError_tT0_T1_T2_jT3_P12ihipStream_tbPNSt15iterator_traitsISM_E10value_typeEPNSS_ISN_E10value_typeEPSO_NS1_7vsmem_tEENKUlT_SM_SN_SO_E_clIPS9_SH_SI_SI_EESL_S11_SM_SN_SO_EUlS11_E_NS1_11comp_targetILNS1_3genE5ELNS1_11target_archE942ELNS1_3gpuE9ELNS1_3repE0EEENS1_48merge_mergepath_partition_config_static_selectorELNS0_4arch9wavefront6targetE1EEEvSN_ ; -- Begin function _ZN7rocprim17ROCPRIM_400000_NS6detail17trampoline_kernelINS0_14default_configENS1_38merge_sort_block_merge_config_selectorIN6thrust23THRUST_200600_302600_NS5tupleIffNS6_9null_typeES8_S8_S8_S8_S8_S8_S8_EENS0_10empty_typeEEEZZNS1_27merge_sort_block_merge_implIS3_NS6_6detail15normal_iteratorINS6_10device_ptrIS9_EEEEPSA_mNS6_4lessIS9_EEEE10hipError_tT0_T1_T2_jT3_P12ihipStream_tbPNSt15iterator_traitsISM_E10value_typeEPNSS_ISN_E10value_typeEPSO_NS1_7vsmem_tEENKUlT_SM_SN_SO_E_clIPS9_SH_SI_SI_EESL_S11_SM_SN_SO_EUlS11_E_NS1_11comp_targetILNS1_3genE5ELNS1_11target_archE942ELNS1_3gpuE9ELNS1_3repE0EEENS1_48merge_mergepath_partition_config_static_selectorELNS0_4arch9wavefront6targetE1EEEvSN_
	.globl	_ZN7rocprim17ROCPRIM_400000_NS6detail17trampoline_kernelINS0_14default_configENS1_38merge_sort_block_merge_config_selectorIN6thrust23THRUST_200600_302600_NS5tupleIffNS6_9null_typeES8_S8_S8_S8_S8_S8_S8_EENS0_10empty_typeEEEZZNS1_27merge_sort_block_merge_implIS3_NS6_6detail15normal_iteratorINS6_10device_ptrIS9_EEEEPSA_mNS6_4lessIS9_EEEE10hipError_tT0_T1_T2_jT3_P12ihipStream_tbPNSt15iterator_traitsISM_E10value_typeEPNSS_ISN_E10value_typeEPSO_NS1_7vsmem_tEENKUlT_SM_SN_SO_E_clIPS9_SH_SI_SI_EESL_S11_SM_SN_SO_EUlS11_E_NS1_11comp_targetILNS1_3genE5ELNS1_11target_archE942ELNS1_3gpuE9ELNS1_3repE0EEENS1_48merge_mergepath_partition_config_static_selectorELNS0_4arch9wavefront6targetE1EEEvSN_
	.p2align	8
	.type	_ZN7rocprim17ROCPRIM_400000_NS6detail17trampoline_kernelINS0_14default_configENS1_38merge_sort_block_merge_config_selectorIN6thrust23THRUST_200600_302600_NS5tupleIffNS6_9null_typeES8_S8_S8_S8_S8_S8_S8_EENS0_10empty_typeEEEZZNS1_27merge_sort_block_merge_implIS3_NS6_6detail15normal_iteratorINS6_10device_ptrIS9_EEEEPSA_mNS6_4lessIS9_EEEE10hipError_tT0_T1_T2_jT3_P12ihipStream_tbPNSt15iterator_traitsISM_E10value_typeEPNSS_ISN_E10value_typeEPSO_NS1_7vsmem_tEENKUlT_SM_SN_SO_E_clIPS9_SH_SI_SI_EESL_S11_SM_SN_SO_EUlS11_E_NS1_11comp_targetILNS1_3genE5ELNS1_11target_archE942ELNS1_3gpuE9ELNS1_3repE0EEENS1_48merge_mergepath_partition_config_static_selectorELNS0_4arch9wavefront6targetE1EEEvSN_,@function
_ZN7rocprim17ROCPRIM_400000_NS6detail17trampoline_kernelINS0_14default_configENS1_38merge_sort_block_merge_config_selectorIN6thrust23THRUST_200600_302600_NS5tupleIffNS6_9null_typeES8_S8_S8_S8_S8_S8_S8_EENS0_10empty_typeEEEZZNS1_27merge_sort_block_merge_implIS3_NS6_6detail15normal_iteratorINS6_10device_ptrIS9_EEEEPSA_mNS6_4lessIS9_EEEE10hipError_tT0_T1_T2_jT3_P12ihipStream_tbPNSt15iterator_traitsISM_E10value_typeEPNSS_ISN_E10value_typeEPSO_NS1_7vsmem_tEENKUlT_SM_SN_SO_E_clIPS9_SH_SI_SI_EESL_S11_SM_SN_SO_EUlS11_E_NS1_11comp_targetILNS1_3genE5ELNS1_11target_archE942ELNS1_3gpuE9ELNS1_3repE0EEENS1_48merge_mergepath_partition_config_static_selectorELNS0_4arch9wavefront6targetE1EEEvSN_: ; @_ZN7rocprim17ROCPRIM_400000_NS6detail17trampoline_kernelINS0_14default_configENS1_38merge_sort_block_merge_config_selectorIN6thrust23THRUST_200600_302600_NS5tupleIffNS6_9null_typeES8_S8_S8_S8_S8_S8_S8_EENS0_10empty_typeEEEZZNS1_27merge_sort_block_merge_implIS3_NS6_6detail15normal_iteratorINS6_10device_ptrIS9_EEEEPSA_mNS6_4lessIS9_EEEE10hipError_tT0_T1_T2_jT3_P12ihipStream_tbPNSt15iterator_traitsISM_E10value_typeEPNSS_ISN_E10value_typeEPSO_NS1_7vsmem_tEENKUlT_SM_SN_SO_E_clIPS9_SH_SI_SI_EESL_S11_SM_SN_SO_EUlS11_E_NS1_11comp_targetILNS1_3genE5ELNS1_11target_archE942ELNS1_3gpuE9ELNS1_3repE0EEENS1_48merge_mergepath_partition_config_static_selectorELNS0_4arch9wavefront6targetE1EEEvSN_
; %bb.0:
	s_load_dword s3, s[0:1], 0x0
	v_lshl_or_b32 v0, s2, 7, v0
	s_waitcnt lgkmcnt(0)
	v_cmp_gt_u32_e32 vcc, s3, v0
	s_and_saveexec_b64 s[2:3], vcc
	s_cbranch_execz .LBB29_10
; %bb.1:
	s_load_dwordx4 s[4:7], s[0:1], 0x8
	s_load_dwordx2 s[2:3], s[0:1], 0x28
	v_mov_b32_e32 v5, 0
	v_mov_b32_e32 v7, v5
	s_waitcnt lgkmcnt(0)
	v_mov_b32_e32 v1, s4
	v_alignbit_b32 v1, s5, v1, 9
	v_and_b32_e32 v1, -2, v1
	v_add_u32_e32 v2, -1, v1
	v_sub_u32_e32 v1, 0, v1
	v_and_b32_e32 v4, v0, v1
	v_lshlrev_b64 v[8:9], 10, v[4:5]
	v_mov_b32_e32 v1, s7
	v_cmp_lt_u64_e32 vcc, s[6:7], v[8:9]
	v_mov_b32_e32 v4, s6
	v_and_b32_e32 v6, v2, v0
	v_cndmask_b32_e32 v3, v9, v1, vcc
	v_cndmask_b32_e32 v2, v8, v4, vcc
	v_lshl_add_u64 v[8:9], v[8:9], 0, s[4:5]
	v_cmp_lt_u64_e32 vcc, s[6:7], v[8:9]
	s_nop 1
	v_cndmask_b32_e32 v11, v9, v1, vcc
	v_cndmask_b32_e32 v10, v8, v4, vcc
	v_lshl_add_u64 v[8:9], v[10:11], 0, s[4:5]
	v_cmp_lt_u64_e32 vcc, s[6:7], v[8:9]
	s_nop 1
	v_cndmask_b32_e32 v14, v8, v4, vcc
	v_cndmask_b32_e32 v1, v9, v1, vcc
	v_sub_co_u32_e32 v8, vcc, v14, v2
	v_lshlrev_b64 v[4:5], 10, v[6:7]
	s_nop 0
	v_subb_co_u32_e32 v9, vcc, v1, v3, vcc
	v_cmp_lt_u64_e32 vcc, v[8:9], v[4:5]
	s_nop 1
	v_cndmask_b32_e32 v13, v5, v9, vcc
	v_cndmask_b32_e32 v12, v4, v8, vcc
	v_sub_co_u32_e32 v6, vcc, v10, v2
	s_nop 1
	v_subb_co_u32_e32 v7, vcc, v11, v3, vcc
	v_sub_co_u32_e32 v4, vcc, v10, v14
	s_nop 1
	v_subb_co_u32_e32 v5, vcc, v11, v1, vcc
	v_lshl_add_u64 v[4:5], v[12:13], 0, v[4:5]
	v_cmp_gt_u64_e32 vcc, v[4:5], v[12:13]
	s_nop 1
	v_cndmask_b32_e64 v5, v5, 0, vcc
	v_cndmask_b32_e64 v4, v4, 0, vcc
	v_cmp_lt_u64_e32 vcc, v[12:13], v[6:7]
	s_nop 1
	v_cndmask_b32_e32 v7, v7, v13, vcc
	v_cndmask_b32_e32 v6, v6, v12, vcc
	v_cmp_lt_u64_e32 vcc, v[4:5], v[6:7]
	s_and_saveexec_b64 s[4:5], vcc
	s_cbranch_execz .LBB29_9
; %bb.2:
	s_load_dwordx2 s[0:1], s[0:1], 0x18
                                        ; implicit-def: $sgpr6_sgpr7
	s_waitcnt lgkmcnt(0)
	v_lshl_add_u64 v[10:11], v[10:11], 3, s[0:1]
	v_lshl_add_u64 v[8:9], v[2:3], 3, s[0:1]
	;; [unrolled: 1-line block ×3, first 2 shown]
	s_mov_b64 s[0:1], 0
	s_branch .LBB29_5
.LBB29_3:                               ;   in Loop: Header=BB29_5 Depth=1
	s_or_b64 exec, exec, s[10:11]
	s_andn2_b64 s[6:7], s[6:7], exec
	s_and_b64 s[10:11], s[12:13], exec
	s_or_b64 s[6:7], s[6:7], s[10:11]
.LBB29_4:                               ;   in Loop: Header=BB29_5 Depth=1
	s_or_b64 exec, exec, s[8:9]
	v_lshl_add_u64 v[14:15], v[12:13], 0, 1
	v_cndmask_b32_e64 v7, v7, v13, s[6:7]
	v_cndmask_b32_e64 v6, v6, v12, s[6:7]
	;; [unrolled: 1-line block ×4, first 2 shown]
	v_cmp_ge_u64_e32 vcc, v[4:5], v[6:7]
	s_or_b64 s[0:1], vcc, s[0:1]
	s_andn2_b64 exec, exec, s[0:1]
	s_cbranch_execz .LBB29_8
.LBB29_5:                               ; =>This Inner Loop Header: Depth=1
	v_lshl_add_u64 v[12:13], v[6:7], 0, v[4:5]
	v_lshrrev_b64 v[12:13], 1, v[12:13]
	v_not_b32_e32 v17, v13
	v_not_b32_e32 v16, v12
	v_lshl_add_u64 v[14:15], v[12:13], 3, v[8:9]
	v_lshl_add_u64 v[16:17], v[16:17], 3, v[10:11]
	global_load_dword v1, v[14:15], off
	global_load_dword v18, v[16:17], off
	s_or_b64 s[6:7], s[6:7], exec
	s_waitcnt vmcnt(0)
	v_cmp_nlt_f32_e32 vcc, v18, v1
	s_and_saveexec_b64 s[8:9], vcc
	s_cbranch_execz .LBB29_4
; %bb.6:                                ;   in Loop: Header=BB29_5 Depth=1
	v_cmp_nlt_f32_e32 vcc, v1, v18
	s_mov_b64 s[12:13], 0
	s_and_saveexec_b64 s[10:11], vcc
	s_cbranch_execz .LBB29_3
; %bb.7:                                ;   in Loop: Header=BB29_5 Depth=1
	global_load_dword v1, v[16:17], off offset:4
	global_load_dword v18, v[14:15], off offset:4
	s_waitcnt vmcnt(0)
	v_cmp_lt_f32_e32 vcc, v1, v18
	s_and_b64 s[12:13], vcc, exec
	s_branch .LBB29_3
.LBB29_8:
	s_or_b64 exec, exec, s[0:1]
.LBB29_9:
	s_or_b64 exec, exec, s[4:5]
	v_mov_b32_e32 v1, 0
	v_lshl_add_u64 v[2:3], v[4:5], 0, v[2:3]
	v_lshl_add_u64 v[0:1], v[0:1], 3, s[2:3]
	global_store_dwordx2 v[0:1], v[2:3], off
.LBB29_10:
	s_endpgm
	.section	.rodata,"a",@progbits
	.p2align	6, 0x0
	.amdhsa_kernel _ZN7rocprim17ROCPRIM_400000_NS6detail17trampoline_kernelINS0_14default_configENS1_38merge_sort_block_merge_config_selectorIN6thrust23THRUST_200600_302600_NS5tupleIffNS6_9null_typeES8_S8_S8_S8_S8_S8_S8_EENS0_10empty_typeEEEZZNS1_27merge_sort_block_merge_implIS3_NS6_6detail15normal_iteratorINS6_10device_ptrIS9_EEEEPSA_mNS6_4lessIS9_EEEE10hipError_tT0_T1_T2_jT3_P12ihipStream_tbPNSt15iterator_traitsISM_E10value_typeEPNSS_ISN_E10value_typeEPSO_NS1_7vsmem_tEENKUlT_SM_SN_SO_E_clIPS9_SH_SI_SI_EESL_S11_SM_SN_SO_EUlS11_E_NS1_11comp_targetILNS1_3genE5ELNS1_11target_archE942ELNS1_3gpuE9ELNS1_3repE0EEENS1_48merge_mergepath_partition_config_static_selectorELNS0_4arch9wavefront6targetE1EEEvSN_
		.amdhsa_group_segment_fixed_size 0
		.amdhsa_private_segment_fixed_size 0
		.amdhsa_kernarg_size 48
		.amdhsa_user_sgpr_count 2
		.amdhsa_user_sgpr_dispatch_ptr 0
		.amdhsa_user_sgpr_queue_ptr 0
		.amdhsa_user_sgpr_kernarg_segment_ptr 1
		.amdhsa_user_sgpr_dispatch_id 0
		.amdhsa_user_sgpr_kernarg_preload_length 0
		.amdhsa_user_sgpr_kernarg_preload_offset 0
		.amdhsa_user_sgpr_private_segment_size 0
		.amdhsa_uses_dynamic_stack 0
		.amdhsa_enable_private_segment 0
		.amdhsa_system_sgpr_workgroup_id_x 1
		.amdhsa_system_sgpr_workgroup_id_y 0
		.amdhsa_system_sgpr_workgroup_id_z 0
		.amdhsa_system_sgpr_workgroup_info 0
		.amdhsa_system_vgpr_workitem_id 0
		.amdhsa_next_free_vgpr 19
		.amdhsa_next_free_sgpr 14
		.amdhsa_accum_offset 20
		.amdhsa_reserve_vcc 1
		.amdhsa_float_round_mode_32 0
		.amdhsa_float_round_mode_16_64 0
		.amdhsa_float_denorm_mode_32 3
		.amdhsa_float_denorm_mode_16_64 3
		.amdhsa_dx10_clamp 1
		.amdhsa_ieee_mode 1
		.amdhsa_fp16_overflow 0
		.amdhsa_tg_split 0
		.amdhsa_exception_fp_ieee_invalid_op 0
		.amdhsa_exception_fp_denorm_src 0
		.amdhsa_exception_fp_ieee_div_zero 0
		.amdhsa_exception_fp_ieee_overflow 0
		.amdhsa_exception_fp_ieee_underflow 0
		.amdhsa_exception_fp_ieee_inexact 0
		.amdhsa_exception_int_div_zero 0
	.end_amdhsa_kernel
	.section	.text._ZN7rocprim17ROCPRIM_400000_NS6detail17trampoline_kernelINS0_14default_configENS1_38merge_sort_block_merge_config_selectorIN6thrust23THRUST_200600_302600_NS5tupleIffNS6_9null_typeES8_S8_S8_S8_S8_S8_S8_EENS0_10empty_typeEEEZZNS1_27merge_sort_block_merge_implIS3_NS6_6detail15normal_iteratorINS6_10device_ptrIS9_EEEEPSA_mNS6_4lessIS9_EEEE10hipError_tT0_T1_T2_jT3_P12ihipStream_tbPNSt15iterator_traitsISM_E10value_typeEPNSS_ISN_E10value_typeEPSO_NS1_7vsmem_tEENKUlT_SM_SN_SO_E_clIPS9_SH_SI_SI_EESL_S11_SM_SN_SO_EUlS11_E_NS1_11comp_targetILNS1_3genE5ELNS1_11target_archE942ELNS1_3gpuE9ELNS1_3repE0EEENS1_48merge_mergepath_partition_config_static_selectorELNS0_4arch9wavefront6targetE1EEEvSN_,"axG",@progbits,_ZN7rocprim17ROCPRIM_400000_NS6detail17trampoline_kernelINS0_14default_configENS1_38merge_sort_block_merge_config_selectorIN6thrust23THRUST_200600_302600_NS5tupleIffNS6_9null_typeES8_S8_S8_S8_S8_S8_S8_EENS0_10empty_typeEEEZZNS1_27merge_sort_block_merge_implIS3_NS6_6detail15normal_iteratorINS6_10device_ptrIS9_EEEEPSA_mNS6_4lessIS9_EEEE10hipError_tT0_T1_T2_jT3_P12ihipStream_tbPNSt15iterator_traitsISM_E10value_typeEPNSS_ISN_E10value_typeEPSO_NS1_7vsmem_tEENKUlT_SM_SN_SO_E_clIPS9_SH_SI_SI_EESL_S11_SM_SN_SO_EUlS11_E_NS1_11comp_targetILNS1_3genE5ELNS1_11target_archE942ELNS1_3gpuE9ELNS1_3repE0EEENS1_48merge_mergepath_partition_config_static_selectorELNS0_4arch9wavefront6targetE1EEEvSN_,comdat
.Lfunc_end29:
	.size	_ZN7rocprim17ROCPRIM_400000_NS6detail17trampoline_kernelINS0_14default_configENS1_38merge_sort_block_merge_config_selectorIN6thrust23THRUST_200600_302600_NS5tupleIffNS6_9null_typeES8_S8_S8_S8_S8_S8_S8_EENS0_10empty_typeEEEZZNS1_27merge_sort_block_merge_implIS3_NS6_6detail15normal_iteratorINS6_10device_ptrIS9_EEEEPSA_mNS6_4lessIS9_EEEE10hipError_tT0_T1_T2_jT3_P12ihipStream_tbPNSt15iterator_traitsISM_E10value_typeEPNSS_ISN_E10value_typeEPSO_NS1_7vsmem_tEENKUlT_SM_SN_SO_E_clIPS9_SH_SI_SI_EESL_S11_SM_SN_SO_EUlS11_E_NS1_11comp_targetILNS1_3genE5ELNS1_11target_archE942ELNS1_3gpuE9ELNS1_3repE0EEENS1_48merge_mergepath_partition_config_static_selectorELNS0_4arch9wavefront6targetE1EEEvSN_, .Lfunc_end29-_ZN7rocprim17ROCPRIM_400000_NS6detail17trampoline_kernelINS0_14default_configENS1_38merge_sort_block_merge_config_selectorIN6thrust23THRUST_200600_302600_NS5tupleIffNS6_9null_typeES8_S8_S8_S8_S8_S8_S8_EENS0_10empty_typeEEEZZNS1_27merge_sort_block_merge_implIS3_NS6_6detail15normal_iteratorINS6_10device_ptrIS9_EEEEPSA_mNS6_4lessIS9_EEEE10hipError_tT0_T1_T2_jT3_P12ihipStream_tbPNSt15iterator_traitsISM_E10value_typeEPNSS_ISN_E10value_typeEPSO_NS1_7vsmem_tEENKUlT_SM_SN_SO_E_clIPS9_SH_SI_SI_EESL_S11_SM_SN_SO_EUlS11_E_NS1_11comp_targetILNS1_3genE5ELNS1_11target_archE942ELNS1_3gpuE9ELNS1_3repE0EEENS1_48merge_mergepath_partition_config_static_selectorELNS0_4arch9wavefront6targetE1EEEvSN_
                                        ; -- End function
	.section	.AMDGPU.csdata,"",@progbits
; Kernel info:
; codeLenInByte = 572
; NumSgprs: 20
; NumVgprs: 19
; NumAgprs: 0
; TotalNumVgprs: 19
; ScratchSize: 0
; MemoryBound: 0
; FloatMode: 240
; IeeeMode: 1
; LDSByteSize: 0 bytes/workgroup (compile time only)
; SGPRBlocks: 2
; VGPRBlocks: 2
; NumSGPRsForWavesPerEU: 20
; NumVGPRsForWavesPerEU: 19
; AccumOffset: 20
; Occupancy: 8
; WaveLimiterHint : 0
; COMPUTE_PGM_RSRC2:SCRATCH_EN: 0
; COMPUTE_PGM_RSRC2:USER_SGPR: 2
; COMPUTE_PGM_RSRC2:TRAP_HANDLER: 0
; COMPUTE_PGM_RSRC2:TGID_X_EN: 1
; COMPUTE_PGM_RSRC2:TGID_Y_EN: 0
; COMPUTE_PGM_RSRC2:TGID_Z_EN: 0
; COMPUTE_PGM_RSRC2:TIDIG_COMP_CNT: 0
; COMPUTE_PGM_RSRC3_GFX90A:ACCUM_OFFSET: 4
; COMPUTE_PGM_RSRC3_GFX90A:TG_SPLIT: 0
	.section	.text._ZN7rocprim17ROCPRIM_400000_NS6detail17trampoline_kernelINS0_14default_configENS1_38merge_sort_block_merge_config_selectorIN6thrust23THRUST_200600_302600_NS5tupleIffNS6_9null_typeES8_S8_S8_S8_S8_S8_S8_EENS0_10empty_typeEEEZZNS1_27merge_sort_block_merge_implIS3_NS6_6detail15normal_iteratorINS6_10device_ptrIS9_EEEEPSA_mNS6_4lessIS9_EEEE10hipError_tT0_T1_T2_jT3_P12ihipStream_tbPNSt15iterator_traitsISM_E10value_typeEPNSS_ISN_E10value_typeEPSO_NS1_7vsmem_tEENKUlT_SM_SN_SO_E_clIPS9_SH_SI_SI_EESL_S11_SM_SN_SO_EUlS11_E_NS1_11comp_targetILNS1_3genE4ELNS1_11target_archE910ELNS1_3gpuE8ELNS1_3repE0EEENS1_48merge_mergepath_partition_config_static_selectorELNS0_4arch9wavefront6targetE1EEEvSN_,"axG",@progbits,_ZN7rocprim17ROCPRIM_400000_NS6detail17trampoline_kernelINS0_14default_configENS1_38merge_sort_block_merge_config_selectorIN6thrust23THRUST_200600_302600_NS5tupleIffNS6_9null_typeES8_S8_S8_S8_S8_S8_S8_EENS0_10empty_typeEEEZZNS1_27merge_sort_block_merge_implIS3_NS6_6detail15normal_iteratorINS6_10device_ptrIS9_EEEEPSA_mNS6_4lessIS9_EEEE10hipError_tT0_T1_T2_jT3_P12ihipStream_tbPNSt15iterator_traitsISM_E10value_typeEPNSS_ISN_E10value_typeEPSO_NS1_7vsmem_tEENKUlT_SM_SN_SO_E_clIPS9_SH_SI_SI_EESL_S11_SM_SN_SO_EUlS11_E_NS1_11comp_targetILNS1_3genE4ELNS1_11target_archE910ELNS1_3gpuE8ELNS1_3repE0EEENS1_48merge_mergepath_partition_config_static_selectorELNS0_4arch9wavefront6targetE1EEEvSN_,comdat
	.protected	_ZN7rocprim17ROCPRIM_400000_NS6detail17trampoline_kernelINS0_14default_configENS1_38merge_sort_block_merge_config_selectorIN6thrust23THRUST_200600_302600_NS5tupleIffNS6_9null_typeES8_S8_S8_S8_S8_S8_S8_EENS0_10empty_typeEEEZZNS1_27merge_sort_block_merge_implIS3_NS6_6detail15normal_iteratorINS6_10device_ptrIS9_EEEEPSA_mNS6_4lessIS9_EEEE10hipError_tT0_T1_T2_jT3_P12ihipStream_tbPNSt15iterator_traitsISM_E10value_typeEPNSS_ISN_E10value_typeEPSO_NS1_7vsmem_tEENKUlT_SM_SN_SO_E_clIPS9_SH_SI_SI_EESL_S11_SM_SN_SO_EUlS11_E_NS1_11comp_targetILNS1_3genE4ELNS1_11target_archE910ELNS1_3gpuE8ELNS1_3repE0EEENS1_48merge_mergepath_partition_config_static_selectorELNS0_4arch9wavefront6targetE1EEEvSN_ ; -- Begin function _ZN7rocprim17ROCPRIM_400000_NS6detail17trampoline_kernelINS0_14default_configENS1_38merge_sort_block_merge_config_selectorIN6thrust23THRUST_200600_302600_NS5tupleIffNS6_9null_typeES8_S8_S8_S8_S8_S8_S8_EENS0_10empty_typeEEEZZNS1_27merge_sort_block_merge_implIS3_NS6_6detail15normal_iteratorINS6_10device_ptrIS9_EEEEPSA_mNS6_4lessIS9_EEEE10hipError_tT0_T1_T2_jT3_P12ihipStream_tbPNSt15iterator_traitsISM_E10value_typeEPNSS_ISN_E10value_typeEPSO_NS1_7vsmem_tEENKUlT_SM_SN_SO_E_clIPS9_SH_SI_SI_EESL_S11_SM_SN_SO_EUlS11_E_NS1_11comp_targetILNS1_3genE4ELNS1_11target_archE910ELNS1_3gpuE8ELNS1_3repE0EEENS1_48merge_mergepath_partition_config_static_selectorELNS0_4arch9wavefront6targetE1EEEvSN_
	.globl	_ZN7rocprim17ROCPRIM_400000_NS6detail17trampoline_kernelINS0_14default_configENS1_38merge_sort_block_merge_config_selectorIN6thrust23THRUST_200600_302600_NS5tupleIffNS6_9null_typeES8_S8_S8_S8_S8_S8_S8_EENS0_10empty_typeEEEZZNS1_27merge_sort_block_merge_implIS3_NS6_6detail15normal_iteratorINS6_10device_ptrIS9_EEEEPSA_mNS6_4lessIS9_EEEE10hipError_tT0_T1_T2_jT3_P12ihipStream_tbPNSt15iterator_traitsISM_E10value_typeEPNSS_ISN_E10value_typeEPSO_NS1_7vsmem_tEENKUlT_SM_SN_SO_E_clIPS9_SH_SI_SI_EESL_S11_SM_SN_SO_EUlS11_E_NS1_11comp_targetILNS1_3genE4ELNS1_11target_archE910ELNS1_3gpuE8ELNS1_3repE0EEENS1_48merge_mergepath_partition_config_static_selectorELNS0_4arch9wavefront6targetE1EEEvSN_
	.p2align	8
	.type	_ZN7rocprim17ROCPRIM_400000_NS6detail17trampoline_kernelINS0_14default_configENS1_38merge_sort_block_merge_config_selectorIN6thrust23THRUST_200600_302600_NS5tupleIffNS6_9null_typeES8_S8_S8_S8_S8_S8_S8_EENS0_10empty_typeEEEZZNS1_27merge_sort_block_merge_implIS3_NS6_6detail15normal_iteratorINS6_10device_ptrIS9_EEEEPSA_mNS6_4lessIS9_EEEE10hipError_tT0_T1_T2_jT3_P12ihipStream_tbPNSt15iterator_traitsISM_E10value_typeEPNSS_ISN_E10value_typeEPSO_NS1_7vsmem_tEENKUlT_SM_SN_SO_E_clIPS9_SH_SI_SI_EESL_S11_SM_SN_SO_EUlS11_E_NS1_11comp_targetILNS1_3genE4ELNS1_11target_archE910ELNS1_3gpuE8ELNS1_3repE0EEENS1_48merge_mergepath_partition_config_static_selectorELNS0_4arch9wavefront6targetE1EEEvSN_,@function
_ZN7rocprim17ROCPRIM_400000_NS6detail17trampoline_kernelINS0_14default_configENS1_38merge_sort_block_merge_config_selectorIN6thrust23THRUST_200600_302600_NS5tupleIffNS6_9null_typeES8_S8_S8_S8_S8_S8_S8_EENS0_10empty_typeEEEZZNS1_27merge_sort_block_merge_implIS3_NS6_6detail15normal_iteratorINS6_10device_ptrIS9_EEEEPSA_mNS6_4lessIS9_EEEE10hipError_tT0_T1_T2_jT3_P12ihipStream_tbPNSt15iterator_traitsISM_E10value_typeEPNSS_ISN_E10value_typeEPSO_NS1_7vsmem_tEENKUlT_SM_SN_SO_E_clIPS9_SH_SI_SI_EESL_S11_SM_SN_SO_EUlS11_E_NS1_11comp_targetILNS1_3genE4ELNS1_11target_archE910ELNS1_3gpuE8ELNS1_3repE0EEENS1_48merge_mergepath_partition_config_static_selectorELNS0_4arch9wavefront6targetE1EEEvSN_: ; @_ZN7rocprim17ROCPRIM_400000_NS6detail17trampoline_kernelINS0_14default_configENS1_38merge_sort_block_merge_config_selectorIN6thrust23THRUST_200600_302600_NS5tupleIffNS6_9null_typeES8_S8_S8_S8_S8_S8_S8_EENS0_10empty_typeEEEZZNS1_27merge_sort_block_merge_implIS3_NS6_6detail15normal_iteratorINS6_10device_ptrIS9_EEEEPSA_mNS6_4lessIS9_EEEE10hipError_tT0_T1_T2_jT3_P12ihipStream_tbPNSt15iterator_traitsISM_E10value_typeEPNSS_ISN_E10value_typeEPSO_NS1_7vsmem_tEENKUlT_SM_SN_SO_E_clIPS9_SH_SI_SI_EESL_S11_SM_SN_SO_EUlS11_E_NS1_11comp_targetILNS1_3genE4ELNS1_11target_archE910ELNS1_3gpuE8ELNS1_3repE0EEENS1_48merge_mergepath_partition_config_static_selectorELNS0_4arch9wavefront6targetE1EEEvSN_
; %bb.0:
	.section	.rodata,"a",@progbits
	.p2align	6, 0x0
	.amdhsa_kernel _ZN7rocprim17ROCPRIM_400000_NS6detail17trampoline_kernelINS0_14default_configENS1_38merge_sort_block_merge_config_selectorIN6thrust23THRUST_200600_302600_NS5tupleIffNS6_9null_typeES8_S8_S8_S8_S8_S8_S8_EENS0_10empty_typeEEEZZNS1_27merge_sort_block_merge_implIS3_NS6_6detail15normal_iteratorINS6_10device_ptrIS9_EEEEPSA_mNS6_4lessIS9_EEEE10hipError_tT0_T1_T2_jT3_P12ihipStream_tbPNSt15iterator_traitsISM_E10value_typeEPNSS_ISN_E10value_typeEPSO_NS1_7vsmem_tEENKUlT_SM_SN_SO_E_clIPS9_SH_SI_SI_EESL_S11_SM_SN_SO_EUlS11_E_NS1_11comp_targetILNS1_3genE4ELNS1_11target_archE910ELNS1_3gpuE8ELNS1_3repE0EEENS1_48merge_mergepath_partition_config_static_selectorELNS0_4arch9wavefront6targetE1EEEvSN_
		.amdhsa_group_segment_fixed_size 0
		.amdhsa_private_segment_fixed_size 0
		.amdhsa_kernarg_size 48
		.amdhsa_user_sgpr_count 2
		.amdhsa_user_sgpr_dispatch_ptr 0
		.amdhsa_user_sgpr_queue_ptr 0
		.amdhsa_user_sgpr_kernarg_segment_ptr 1
		.amdhsa_user_sgpr_dispatch_id 0
		.amdhsa_user_sgpr_kernarg_preload_length 0
		.amdhsa_user_sgpr_kernarg_preload_offset 0
		.amdhsa_user_sgpr_private_segment_size 0
		.amdhsa_uses_dynamic_stack 0
		.amdhsa_enable_private_segment 0
		.amdhsa_system_sgpr_workgroup_id_x 1
		.amdhsa_system_sgpr_workgroup_id_y 0
		.amdhsa_system_sgpr_workgroup_id_z 0
		.amdhsa_system_sgpr_workgroup_info 0
		.amdhsa_system_vgpr_workitem_id 0
		.amdhsa_next_free_vgpr 1
		.amdhsa_next_free_sgpr 0
		.amdhsa_accum_offset 4
		.amdhsa_reserve_vcc 0
		.amdhsa_float_round_mode_32 0
		.amdhsa_float_round_mode_16_64 0
		.amdhsa_float_denorm_mode_32 3
		.amdhsa_float_denorm_mode_16_64 3
		.amdhsa_dx10_clamp 1
		.amdhsa_ieee_mode 1
		.amdhsa_fp16_overflow 0
		.amdhsa_tg_split 0
		.amdhsa_exception_fp_ieee_invalid_op 0
		.amdhsa_exception_fp_denorm_src 0
		.amdhsa_exception_fp_ieee_div_zero 0
		.amdhsa_exception_fp_ieee_overflow 0
		.amdhsa_exception_fp_ieee_underflow 0
		.amdhsa_exception_fp_ieee_inexact 0
		.amdhsa_exception_int_div_zero 0
	.end_amdhsa_kernel
	.section	.text._ZN7rocprim17ROCPRIM_400000_NS6detail17trampoline_kernelINS0_14default_configENS1_38merge_sort_block_merge_config_selectorIN6thrust23THRUST_200600_302600_NS5tupleIffNS6_9null_typeES8_S8_S8_S8_S8_S8_S8_EENS0_10empty_typeEEEZZNS1_27merge_sort_block_merge_implIS3_NS6_6detail15normal_iteratorINS6_10device_ptrIS9_EEEEPSA_mNS6_4lessIS9_EEEE10hipError_tT0_T1_T2_jT3_P12ihipStream_tbPNSt15iterator_traitsISM_E10value_typeEPNSS_ISN_E10value_typeEPSO_NS1_7vsmem_tEENKUlT_SM_SN_SO_E_clIPS9_SH_SI_SI_EESL_S11_SM_SN_SO_EUlS11_E_NS1_11comp_targetILNS1_3genE4ELNS1_11target_archE910ELNS1_3gpuE8ELNS1_3repE0EEENS1_48merge_mergepath_partition_config_static_selectorELNS0_4arch9wavefront6targetE1EEEvSN_,"axG",@progbits,_ZN7rocprim17ROCPRIM_400000_NS6detail17trampoline_kernelINS0_14default_configENS1_38merge_sort_block_merge_config_selectorIN6thrust23THRUST_200600_302600_NS5tupleIffNS6_9null_typeES8_S8_S8_S8_S8_S8_S8_EENS0_10empty_typeEEEZZNS1_27merge_sort_block_merge_implIS3_NS6_6detail15normal_iteratorINS6_10device_ptrIS9_EEEEPSA_mNS6_4lessIS9_EEEE10hipError_tT0_T1_T2_jT3_P12ihipStream_tbPNSt15iterator_traitsISM_E10value_typeEPNSS_ISN_E10value_typeEPSO_NS1_7vsmem_tEENKUlT_SM_SN_SO_E_clIPS9_SH_SI_SI_EESL_S11_SM_SN_SO_EUlS11_E_NS1_11comp_targetILNS1_3genE4ELNS1_11target_archE910ELNS1_3gpuE8ELNS1_3repE0EEENS1_48merge_mergepath_partition_config_static_selectorELNS0_4arch9wavefront6targetE1EEEvSN_,comdat
.Lfunc_end30:
	.size	_ZN7rocprim17ROCPRIM_400000_NS6detail17trampoline_kernelINS0_14default_configENS1_38merge_sort_block_merge_config_selectorIN6thrust23THRUST_200600_302600_NS5tupleIffNS6_9null_typeES8_S8_S8_S8_S8_S8_S8_EENS0_10empty_typeEEEZZNS1_27merge_sort_block_merge_implIS3_NS6_6detail15normal_iteratorINS6_10device_ptrIS9_EEEEPSA_mNS6_4lessIS9_EEEE10hipError_tT0_T1_T2_jT3_P12ihipStream_tbPNSt15iterator_traitsISM_E10value_typeEPNSS_ISN_E10value_typeEPSO_NS1_7vsmem_tEENKUlT_SM_SN_SO_E_clIPS9_SH_SI_SI_EESL_S11_SM_SN_SO_EUlS11_E_NS1_11comp_targetILNS1_3genE4ELNS1_11target_archE910ELNS1_3gpuE8ELNS1_3repE0EEENS1_48merge_mergepath_partition_config_static_selectorELNS0_4arch9wavefront6targetE1EEEvSN_, .Lfunc_end30-_ZN7rocprim17ROCPRIM_400000_NS6detail17trampoline_kernelINS0_14default_configENS1_38merge_sort_block_merge_config_selectorIN6thrust23THRUST_200600_302600_NS5tupleIffNS6_9null_typeES8_S8_S8_S8_S8_S8_S8_EENS0_10empty_typeEEEZZNS1_27merge_sort_block_merge_implIS3_NS6_6detail15normal_iteratorINS6_10device_ptrIS9_EEEEPSA_mNS6_4lessIS9_EEEE10hipError_tT0_T1_T2_jT3_P12ihipStream_tbPNSt15iterator_traitsISM_E10value_typeEPNSS_ISN_E10value_typeEPSO_NS1_7vsmem_tEENKUlT_SM_SN_SO_E_clIPS9_SH_SI_SI_EESL_S11_SM_SN_SO_EUlS11_E_NS1_11comp_targetILNS1_3genE4ELNS1_11target_archE910ELNS1_3gpuE8ELNS1_3repE0EEENS1_48merge_mergepath_partition_config_static_selectorELNS0_4arch9wavefront6targetE1EEEvSN_
                                        ; -- End function
	.section	.AMDGPU.csdata,"",@progbits
; Kernel info:
; codeLenInByte = 0
; NumSgprs: 6
; NumVgprs: 0
; NumAgprs: 0
; TotalNumVgprs: 0
; ScratchSize: 0
; MemoryBound: 0
; FloatMode: 240
; IeeeMode: 1
; LDSByteSize: 0 bytes/workgroup (compile time only)
; SGPRBlocks: 0
; VGPRBlocks: 0
; NumSGPRsForWavesPerEU: 6
; NumVGPRsForWavesPerEU: 1
; AccumOffset: 4
; Occupancy: 8
; WaveLimiterHint : 0
; COMPUTE_PGM_RSRC2:SCRATCH_EN: 0
; COMPUTE_PGM_RSRC2:USER_SGPR: 2
; COMPUTE_PGM_RSRC2:TRAP_HANDLER: 0
; COMPUTE_PGM_RSRC2:TGID_X_EN: 1
; COMPUTE_PGM_RSRC2:TGID_Y_EN: 0
; COMPUTE_PGM_RSRC2:TGID_Z_EN: 0
; COMPUTE_PGM_RSRC2:TIDIG_COMP_CNT: 0
; COMPUTE_PGM_RSRC3_GFX90A:ACCUM_OFFSET: 0
; COMPUTE_PGM_RSRC3_GFX90A:TG_SPLIT: 0
	.section	.text._ZN7rocprim17ROCPRIM_400000_NS6detail17trampoline_kernelINS0_14default_configENS1_38merge_sort_block_merge_config_selectorIN6thrust23THRUST_200600_302600_NS5tupleIffNS6_9null_typeES8_S8_S8_S8_S8_S8_S8_EENS0_10empty_typeEEEZZNS1_27merge_sort_block_merge_implIS3_NS6_6detail15normal_iteratorINS6_10device_ptrIS9_EEEEPSA_mNS6_4lessIS9_EEEE10hipError_tT0_T1_T2_jT3_P12ihipStream_tbPNSt15iterator_traitsISM_E10value_typeEPNSS_ISN_E10value_typeEPSO_NS1_7vsmem_tEENKUlT_SM_SN_SO_E_clIPS9_SH_SI_SI_EESL_S11_SM_SN_SO_EUlS11_E_NS1_11comp_targetILNS1_3genE3ELNS1_11target_archE908ELNS1_3gpuE7ELNS1_3repE0EEENS1_48merge_mergepath_partition_config_static_selectorELNS0_4arch9wavefront6targetE1EEEvSN_,"axG",@progbits,_ZN7rocprim17ROCPRIM_400000_NS6detail17trampoline_kernelINS0_14default_configENS1_38merge_sort_block_merge_config_selectorIN6thrust23THRUST_200600_302600_NS5tupleIffNS6_9null_typeES8_S8_S8_S8_S8_S8_S8_EENS0_10empty_typeEEEZZNS1_27merge_sort_block_merge_implIS3_NS6_6detail15normal_iteratorINS6_10device_ptrIS9_EEEEPSA_mNS6_4lessIS9_EEEE10hipError_tT0_T1_T2_jT3_P12ihipStream_tbPNSt15iterator_traitsISM_E10value_typeEPNSS_ISN_E10value_typeEPSO_NS1_7vsmem_tEENKUlT_SM_SN_SO_E_clIPS9_SH_SI_SI_EESL_S11_SM_SN_SO_EUlS11_E_NS1_11comp_targetILNS1_3genE3ELNS1_11target_archE908ELNS1_3gpuE7ELNS1_3repE0EEENS1_48merge_mergepath_partition_config_static_selectorELNS0_4arch9wavefront6targetE1EEEvSN_,comdat
	.protected	_ZN7rocprim17ROCPRIM_400000_NS6detail17trampoline_kernelINS0_14default_configENS1_38merge_sort_block_merge_config_selectorIN6thrust23THRUST_200600_302600_NS5tupleIffNS6_9null_typeES8_S8_S8_S8_S8_S8_S8_EENS0_10empty_typeEEEZZNS1_27merge_sort_block_merge_implIS3_NS6_6detail15normal_iteratorINS6_10device_ptrIS9_EEEEPSA_mNS6_4lessIS9_EEEE10hipError_tT0_T1_T2_jT3_P12ihipStream_tbPNSt15iterator_traitsISM_E10value_typeEPNSS_ISN_E10value_typeEPSO_NS1_7vsmem_tEENKUlT_SM_SN_SO_E_clIPS9_SH_SI_SI_EESL_S11_SM_SN_SO_EUlS11_E_NS1_11comp_targetILNS1_3genE3ELNS1_11target_archE908ELNS1_3gpuE7ELNS1_3repE0EEENS1_48merge_mergepath_partition_config_static_selectorELNS0_4arch9wavefront6targetE1EEEvSN_ ; -- Begin function _ZN7rocprim17ROCPRIM_400000_NS6detail17trampoline_kernelINS0_14default_configENS1_38merge_sort_block_merge_config_selectorIN6thrust23THRUST_200600_302600_NS5tupleIffNS6_9null_typeES8_S8_S8_S8_S8_S8_S8_EENS0_10empty_typeEEEZZNS1_27merge_sort_block_merge_implIS3_NS6_6detail15normal_iteratorINS6_10device_ptrIS9_EEEEPSA_mNS6_4lessIS9_EEEE10hipError_tT0_T1_T2_jT3_P12ihipStream_tbPNSt15iterator_traitsISM_E10value_typeEPNSS_ISN_E10value_typeEPSO_NS1_7vsmem_tEENKUlT_SM_SN_SO_E_clIPS9_SH_SI_SI_EESL_S11_SM_SN_SO_EUlS11_E_NS1_11comp_targetILNS1_3genE3ELNS1_11target_archE908ELNS1_3gpuE7ELNS1_3repE0EEENS1_48merge_mergepath_partition_config_static_selectorELNS0_4arch9wavefront6targetE1EEEvSN_
	.globl	_ZN7rocprim17ROCPRIM_400000_NS6detail17trampoline_kernelINS0_14default_configENS1_38merge_sort_block_merge_config_selectorIN6thrust23THRUST_200600_302600_NS5tupleIffNS6_9null_typeES8_S8_S8_S8_S8_S8_S8_EENS0_10empty_typeEEEZZNS1_27merge_sort_block_merge_implIS3_NS6_6detail15normal_iteratorINS6_10device_ptrIS9_EEEEPSA_mNS6_4lessIS9_EEEE10hipError_tT0_T1_T2_jT3_P12ihipStream_tbPNSt15iterator_traitsISM_E10value_typeEPNSS_ISN_E10value_typeEPSO_NS1_7vsmem_tEENKUlT_SM_SN_SO_E_clIPS9_SH_SI_SI_EESL_S11_SM_SN_SO_EUlS11_E_NS1_11comp_targetILNS1_3genE3ELNS1_11target_archE908ELNS1_3gpuE7ELNS1_3repE0EEENS1_48merge_mergepath_partition_config_static_selectorELNS0_4arch9wavefront6targetE1EEEvSN_
	.p2align	8
	.type	_ZN7rocprim17ROCPRIM_400000_NS6detail17trampoline_kernelINS0_14default_configENS1_38merge_sort_block_merge_config_selectorIN6thrust23THRUST_200600_302600_NS5tupleIffNS6_9null_typeES8_S8_S8_S8_S8_S8_S8_EENS0_10empty_typeEEEZZNS1_27merge_sort_block_merge_implIS3_NS6_6detail15normal_iteratorINS6_10device_ptrIS9_EEEEPSA_mNS6_4lessIS9_EEEE10hipError_tT0_T1_T2_jT3_P12ihipStream_tbPNSt15iterator_traitsISM_E10value_typeEPNSS_ISN_E10value_typeEPSO_NS1_7vsmem_tEENKUlT_SM_SN_SO_E_clIPS9_SH_SI_SI_EESL_S11_SM_SN_SO_EUlS11_E_NS1_11comp_targetILNS1_3genE3ELNS1_11target_archE908ELNS1_3gpuE7ELNS1_3repE0EEENS1_48merge_mergepath_partition_config_static_selectorELNS0_4arch9wavefront6targetE1EEEvSN_,@function
_ZN7rocprim17ROCPRIM_400000_NS6detail17trampoline_kernelINS0_14default_configENS1_38merge_sort_block_merge_config_selectorIN6thrust23THRUST_200600_302600_NS5tupleIffNS6_9null_typeES8_S8_S8_S8_S8_S8_S8_EENS0_10empty_typeEEEZZNS1_27merge_sort_block_merge_implIS3_NS6_6detail15normal_iteratorINS6_10device_ptrIS9_EEEEPSA_mNS6_4lessIS9_EEEE10hipError_tT0_T1_T2_jT3_P12ihipStream_tbPNSt15iterator_traitsISM_E10value_typeEPNSS_ISN_E10value_typeEPSO_NS1_7vsmem_tEENKUlT_SM_SN_SO_E_clIPS9_SH_SI_SI_EESL_S11_SM_SN_SO_EUlS11_E_NS1_11comp_targetILNS1_3genE3ELNS1_11target_archE908ELNS1_3gpuE7ELNS1_3repE0EEENS1_48merge_mergepath_partition_config_static_selectorELNS0_4arch9wavefront6targetE1EEEvSN_: ; @_ZN7rocprim17ROCPRIM_400000_NS6detail17trampoline_kernelINS0_14default_configENS1_38merge_sort_block_merge_config_selectorIN6thrust23THRUST_200600_302600_NS5tupleIffNS6_9null_typeES8_S8_S8_S8_S8_S8_S8_EENS0_10empty_typeEEEZZNS1_27merge_sort_block_merge_implIS3_NS6_6detail15normal_iteratorINS6_10device_ptrIS9_EEEEPSA_mNS6_4lessIS9_EEEE10hipError_tT0_T1_T2_jT3_P12ihipStream_tbPNSt15iterator_traitsISM_E10value_typeEPNSS_ISN_E10value_typeEPSO_NS1_7vsmem_tEENKUlT_SM_SN_SO_E_clIPS9_SH_SI_SI_EESL_S11_SM_SN_SO_EUlS11_E_NS1_11comp_targetILNS1_3genE3ELNS1_11target_archE908ELNS1_3gpuE7ELNS1_3repE0EEENS1_48merge_mergepath_partition_config_static_selectorELNS0_4arch9wavefront6targetE1EEEvSN_
; %bb.0:
	.section	.rodata,"a",@progbits
	.p2align	6, 0x0
	.amdhsa_kernel _ZN7rocprim17ROCPRIM_400000_NS6detail17trampoline_kernelINS0_14default_configENS1_38merge_sort_block_merge_config_selectorIN6thrust23THRUST_200600_302600_NS5tupleIffNS6_9null_typeES8_S8_S8_S8_S8_S8_S8_EENS0_10empty_typeEEEZZNS1_27merge_sort_block_merge_implIS3_NS6_6detail15normal_iteratorINS6_10device_ptrIS9_EEEEPSA_mNS6_4lessIS9_EEEE10hipError_tT0_T1_T2_jT3_P12ihipStream_tbPNSt15iterator_traitsISM_E10value_typeEPNSS_ISN_E10value_typeEPSO_NS1_7vsmem_tEENKUlT_SM_SN_SO_E_clIPS9_SH_SI_SI_EESL_S11_SM_SN_SO_EUlS11_E_NS1_11comp_targetILNS1_3genE3ELNS1_11target_archE908ELNS1_3gpuE7ELNS1_3repE0EEENS1_48merge_mergepath_partition_config_static_selectorELNS0_4arch9wavefront6targetE1EEEvSN_
		.amdhsa_group_segment_fixed_size 0
		.amdhsa_private_segment_fixed_size 0
		.amdhsa_kernarg_size 48
		.amdhsa_user_sgpr_count 2
		.amdhsa_user_sgpr_dispatch_ptr 0
		.amdhsa_user_sgpr_queue_ptr 0
		.amdhsa_user_sgpr_kernarg_segment_ptr 1
		.amdhsa_user_sgpr_dispatch_id 0
		.amdhsa_user_sgpr_kernarg_preload_length 0
		.amdhsa_user_sgpr_kernarg_preload_offset 0
		.amdhsa_user_sgpr_private_segment_size 0
		.amdhsa_uses_dynamic_stack 0
		.amdhsa_enable_private_segment 0
		.amdhsa_system_sgpr_workgroup_id_x 1
		.amdhsa_system_sgpr_workgroup_id_y 0
		.amdhsa_system_sgpr_workgroup_id_z 0
		.amdhsa_system_sgpr_workgroup_info 0
		.amdhsa_system_vgpr_workitem_id 0
		.amdhsa_next_free_vgpr 1
		.amdhsa_next_free_sgpr 0
		.amdhsa_accum_offset 4
		.amdhsa_reserve_vcc 0
		.amdhsa_float_round_mode_32 0
		.amdhsa_float_round_mode_16_64 0
		.amdhsa_float_denorm_mode_32 3
		.amdhsa_float_denorm_mode_16_64 3
		.amdhsa_dx10_clamp 1
		.amdhsa_ieee_mode 1
		.amdhsa_fp16_overflow 0
		.amdhsa_tg_split 0
		.amdhsa_exception_fp_ieee_invalid_op 0
		.amdhsa_exception_fp_denorm_src 0
		.amdhsa_exception_fp_ieee_div_zero 0
		.amdhsa_exception_fp_ieee_overflow 0
		.amdhsa_exception_fp_ieee_underflow 0
		.amdhsa_exception_fp_ieee_inexact 0
		.amdhsa_exception_int_div_zero 0
	.end_amdhsa_kernel
	.section	.text._ZN7rocprim17ROCPRIM_400000_NS6detail17trampoline_kernelINS0_14default_configENS1_38merge_sort_block_merge_config_selectorIN6thrust23THRUST_200600_302600_NS5tupleIffNS6_9null_typeES8_S8_S8_S8_S8_S8_S8_EENS0_10empty_typeEEEZZNS1_27merge_sort_block_merge_implIS3_NS6_6detail15normal_iteratorINS6_10device_ptrIS9_EEEEPSA_mNS6_4lessIS9_EEEE10hipError_tT0_T1_T2_jT3_P12ihipStream_tbPNSt15iterator_traitsISM_E10value_typeEPNSS_ISN_E10value_typeEPSO_NS1_7vsmem_tEENKUlT_SM_SN_SO_E_clIPS9_SH_SI_SI_EESL_S11_SM_SN_SO_EUlS11_E_NS1_11comp_targetILNS1_3genE3ELNS1_11target_archE908ELNS1_3gpuE7ELNS1_3repE0EEENS1_48merge_mergepath_partition_config_static_selectorELNS0_4arch9wavefront6targetE1EEEvSN_,"axG",@progbits,_ZN7rocprim17ROCPRIM_400000_NS6detail17trampoline_kernelINS0_14default_configENS1_38merge_sort_block_merge_config_selectorIN6thrust23THRUST_200600_302600_NS5tupleIffNS6_9null_typeES8_S8_S8_S8_S8_S8_S8_EENS0_10empty_typeEEEZZNS1_27merge_sort_block_merge_implIS3_NS6_6detail15normal_iteratorINS6_10device_ptrIS9_EEEEPSA_mNS6_4lessIS9_EEEE10hipError_tT0_T1_T2_jT3_P12ihipStream_tbPNSt15iterator_traitsISM_E10value_typeEPNSS_ISN_E10value_typeEPSO_NS1_7vsmem_tEENKUlT_SM_SN_SO_E_clIPS9_SH_SI_SI_EESL_S11_SM_SN_SO_EUlS11_E_NS1_11comp_targetILNS1_3genE3ELNS1_11target_archE908ELNS1_3gpuE7ELNS1_3repE0EEENS1_48merge_mergepath_partition_config_static_selectorELNS0_4arch9wavefront6targetE1EEEvSN_,comdat
.Lfunc_end31:
	.size	_ZN7rocprim17ROCPRIM_400000_NS6detail17trampoline_kernelINS0_14default_configENS1_38merge_sort_block_merge_config_selectorIN6thrust23THRUST_200600_302600_NS5tupleIffNS6_9null_typeES8_S8_S8_S8_S8_S8_S8_EENS0_10empty_typeEEEZZNS1_27merge_sort_block_merge_implIS3_NS6_6detail15normal_iteratorINS6_10device_ptrIS9_EEEEPSA_mNS6_4lessIS9_EEEE10hipError_tT0_T1_T2_jT3_P12ihipStream_tbPNSt15iterator_traitsISM_E10value_typeEPNSS_ISN_E10value_typeEPSO_NS1_7vsmem_tEENKUlT_SM_SN_SO_E_clIPS9_SH_SI_SI_EESL_S11_SM_SN_SO_EUlS11_E_NS1_11comp_targetILNS1_3genE3ELNS1_11target_archE908ELNS1_3gpuE7ELNS1_3repE0EEENS1_48merge_mergepath_partition_config_static_selectorELNS0_4arch9wavefront6targetE1EEEvSN_, .Lfunc_end31-_ZN7rocprim17ROCPRIM_400000_NS6detail17trampoline_kernelINS0_14default_configENS1_38merge_sort_block_merge_config_selectorIN6thrust23THRUST_200600_302600_NS5tupleIffNS6_9null_typeES8_S8_S8_S8_S8_S8_S8_EENS0_10empty_typeEEEZZNS1_27merge_sort_block_merge_implIS3_NS6_6detail15normal_iteratorINS6_10device_ptrIS9_EEEEPSA_mNS6_4lessIS9_EEEE10hipError_tT0_T1_T2_jT3_P12ihipStream_tbPNSt15iterator_traitsISM_E10value_typeEPNSS_ISN_E10value_typeEPSO_NS1_7vsmem_tEENKUlT_SM_SN_SO_E_clIPS9_SH_SI_SI_EESL_S11_SM_SN_SO_EUlS11_E_NS1_11comp_targetILNS1_3genE3ELNS1_11target_archE908ELNS1_3gpuE7ELNS1_3repE0EEENS1_48merge_mergepath_partition_config_static_selectorELNS0_4arch9wavefront6targetE1EEEvSN_
                                        ; -- End function
	.section	.AMDGPU.csdata,"",@progbits
; Kernel info:
; codeLenInByte = 0
; NumSgprs: 6
; NumVgprs: 0
; NumAgprs: 0
; TotalNumVgprs: 0
; ScratchSize: 0
; MemoryBound: 0
; FloatMode: 240
; IeeeMode: 1
; LDSByteSize: 0 bytes/workgroup (compile time only)
; SGPRBlocks: 0
; VGPRBlocks: 0
; NumSGPRsForWavesPerEU: 6
; NumVGPRsForWavesPerEU: 1
; AccumOffset: 4
; Occupancy: 8
; WaveLimiterHint : 0
; COMPUTE_PGM_RSRC2:SCRATCH_EN: 0
; COMPUTE_PGM_RSRC2:USER_SGPR: 2
; COMPUTE_PGM_RSRC2:TRAP_HANDLER: 0
; COMPUTE_PGM_RSRC2:TGID_X_EN: 1
; COMPUTE_PGM_RSRC2:TGID_Y_EN: 0
; COMPUTE_PGM_RSRC2:TGID_Z_EN: 0
; COMPUTE_PGM_RSRC2:TIDIG_COMP_CNT: 0
; COMPUTE_PGM_RSRC3_GFX90A:ACCUM_OFFSET: 0
; COMPUTE_PGM_RSRC3_GFX90A:TG_SPLIT: 0
	.section	.text._ZN7rocprim17ROCPRIM_400000_NS6detail17trampoline_kernelINS0_14default_configENS1_38merge_sort_block_merge_config_selectorIN6thrust23THRUST_200600_302600_NS5tupleIffNS6_9null_typeES8_S8_S8_S8_S8_S8_S8_EENS0_10empty_typeEEEZZNS1_27merge_sort_block_merge_implIS3_NS6_6detail15normal_iteratorINS6_10device_ptrIS9_EEEEPSA_mNS6_4lessIS9_EEEE10hipError_tT0_T1_T2_jT3_P12ihipStream_tbPNSt15iterator_traitsISM_E10value_typeEPNSS_ISN_E10value_typeEPSO_NS1_7vsmem_tEENKUlT_SM_SN_SO_E_clIPS9_SH_SI_SI_EESL_S11_SM_SN_SO_EUlS11_E_NS1_11comp_targetILNS1_3genE2ELNS1_11target_archE906ELNS1_3gpuE6ELNS1_3repE0EEENS1_48merge_mergepath_partition_config_static_selectorELNS0_4arch9wavefront6targetE1EEEvSN_,"axG",@progbits,_ZN7rocprim17ROCPRIM_400000_NS6detail17trampoline_kernelINS0_14default_configENS1_38merge_sort_block_merge_config_selectorIN6thrust23THRUST_200600_302600_NS5tupleIffNS6_9null_typeES8_S8_S8_S8_S8_S8_S8_EENS0_10empty_typeEEEZZNS1_27merge_sort_block_merge_implIS3_NS6_6detail15normal_iteratorINS6_10device_ptrIS9_EEEEPSA_mNS6_4lessIS9_EEEE10hipError_tT0_T1_T2_jT3_P12ihipStream_tbPNSt15iterator_traitsISM_E10value_typeEPNSS_ISN_E10value_typeEPSO_NS1_7vsmem_tEENKUlT_SM_SN_SO_E_clIPS9_SH_SI_SI_EESL_S11_SM_SN_SO_EUlS11_E_NS1_11comp_targetILNS1_3genE2ELNS1_11target_archE906ELNS1_3gpuE6ELNS1_3repE0EEENS1_48merge_mergepath_partition_config_static_selectorELNS0_4arch9wavefront6targetE1EEEvSN_,comdat
	.protected	_ZN7rocprim17ROCPRIM_400000_NS6detail17trampoline_kernelINS0_14default_configENS1_38merge_sort_block_merge_config_selectorIN6thrust23THRUST_200600_302600_NS5tupleIffNS6_9null_typeES8_S8_S8_S8_S8_S8_S8_EENS0_10empty_typeEEEZZNS1_27merge_sort_block_merge_implIS3_NS6_6detail15normal_iteratorINS6_10device_ptrIS9_EEEEPSA_mNS6_4lessIS9_EEEE10hipError_tT0_T1_T2_jT3_P12ihipStream_tbPNSt15iterator_traitsISM_E10value_typeEPNSS_ISN_E10value_typeEPSO_NS1_7vsmem_tEENKUlT_SM_SN_SO_E_clIPS9_SH_SI_SI_EESL_S11_SM_SN_SO_EUlS11_E_NS1_11comp_targetILNS1_3genE2ELNS1_11target_archE906ELNS1_3gpuE6ELNS1_3repE0EEENS1_48merge_mergepath_partition_config_static_selectorELNS0_4arch9wavefront6targetE1EEEvSN_ ; -- Begin function _ZN7rocprim17ROCPRIM_400000_NS6detail17trampoline_kernelINS0_14default_configENS1_38merge_sort_block_merge_config_selectorIN6thrust23THRUST_200600_302600_NS5tupleIffNS6_9null_typeES8_S8_S8_S8_S8_S8_S8_EENS0_10empty_typeEEEZZNS1_27merge_sort_block_merge_implIS3_NS6_6detail15normal_iteratorINS6_10device_ptrIS9_EEEEPSA_mNS6_4lessIS9_EEEE10hipError_tT0_T1_T2_jT3_P12ihipStream_tbPNSt15iterator_traitsISM_E10value_typeEPNSS_ISN_E10value_typeEPSO_NS1_7vsmem_tEENKUlT_SM_SN_SO_E_clIPS9_SH_SI_SI_EESL_S11_SM_SN_SO_EUlS11_E_NS1_11comp_targetILNS1_3genE2ELNS1_11target_archE906ELNS1_3gpuE6ELNS1_3repE0EEENS1_48merge_mergepath_partition_config_static_selectorELNS0_4arch9wavefront6targetE1EEEvSN_
	.globl	_ZN7rocprim17ROCPRIM_400000_NS6detail17trampoline_kernelINS0_14default_configENS1_38merge_sort_block_merge_config_selectorIN6thrust23THRUST_200600_302600_NS5tupleIffNS6_9null_typeES8_S8_S8_S8_S8_S8_S8_EENS0_10empty_typeEEEZZNS1_27merge_sort_block_merge_implIS3_NS6_6detail15normal_iteratorINS6_10device_ptrIS9_EEEEPSA_mNS6_4lessIS9_EEEE10hipError_tT0_T1_T2_jT3_P12ihipStream_tbPNSt15iterator_traitsISM_E10value_typeEPNSS_ISN_E10value_typeEPSO_NS1_7vsmem_tEENKUlT_SM_SN_SO_E_clIPS9_SH_SI_SI_EESL_S11_SM_SN_SO_EUlS11_E_NS1_11comp_targetILNS1_3genE2ELNS1_11target_archE906ELNS1_3gpuE6ELNS1_3repE0EEENS1_48merge_mergepath_partition_config_static_selectorELNS0_4arch9wavefront6targetE1EEEvSN_
	.p2align	8
	.type	_ZN7rocprim17ROCPRIM_400000_NS6detail17trampoline_kernelINS0_14default_configENS1_38merge_sort_block_merge_config_selectorIN6thrust23THRUST_200600_302600_NS5tupleIffNS6_9null_typeES8_S8_S8_S8_S8_S8_S8_EENS0_10empty_typeEEEZZNS1_27merge_sort_block_merge_implIS3_NS6_6detail15normal_iteratorINS6_10device_ptrIS9_EEEEPSA_mNS6_4lessIS9_EEEE10hipError_tT0_T1_T2_jT3_P12ihipStream_tbPNSt15iterator_traitsISM_E10value_typeEPNSS_ISN_E10value_typeEPSO_NS1_7vsmem_tEENKUlT_SM_SN_SO_E_clIPS9_SH_SI_SI_EESL_S11_SM_SN_SO_EUlS11_E_NS1_11comp_targetILNS1_3genE2ELNS1_11target_archE906ELNS1_3gpuE6ELNS1_3repE0EEENS1_48merge_mergepath_partition_config_static_selectorELNS0_4arch9wavefront6targetE1EEEvSN_,@function
_ZN7rocprim17ROCPRIM_400000_NS6detail17trampoline_kernelINS0_14default_configENS1_38merge_sort_block_merge_config_selectorIN6thrust23THRUST_200600_302600_NS5tupleIffNS6_9null_typeES8_S8_S8_S8_S8_S8_S8_EENS0_10empty_typeEEEZZNS1_27merge_sort_block_merge_implIS3_NS6_6detail15normal_iteratorINS6_10device_ptrIS9_EEEEPSA_mNS6_4lessIS9_EEEE10hipError_tT0_T1_T2_jT3_P12ihipStream_tbPNSt15iterator_traitsISM_E10value_typeEPNSS_ISN_E10value_typeEPSO_NS1_7vsmem_tEENKUlT_SM_SN_SO_E_clIPS9_SH_SI_SI_EESL_S11_SM_SN_SO_EUlS11_E_NS1_11comp_targetILNS1_3genE2ELNS1_11target_archE906ELNS1_3gpuE6ELNS1_3repE0EEENS1_48merge_mergepath_partition_config_static_selectorELNS0_4arch9wavefront6targetE1EEEvSN_: ; @_ZN7rocprim17ROCPRIM_400000_NS6detail17trampoline_kernelINS0_14default_configENS1_38merge_sort_block_merge_config_selectorIN6thrust23THRUST_200600_302600_NS5tupleIffNS6_9null_typeES8_S8_S8_S8_S8_S8_S8_EENS0_10empty_typeEEEZZNS1_27merge_sort_block_merge_implIS3_NS6_6detail15normal_iteratorINS6_10device_ptrIS9_EEEEPSA_mNS6_4lessIS9_EEEE10hipError_tT0_T1_T2_jT3_P12ihipStream_tbPNSt15iterator_traitsISM_E10value_typeEPNSS_ISN_E10value_typeEPSO_NS1_7vsmem_tEENKUlT_SM_SN_SO_E_clIPS9_SH_SI_SI_EESL_S11_SM_SN_SO_EUlS11_E_NS1_11comp_targetILNS1_3genE2ELNS1_11target_archE906ELNS1_3gpuE6ELNS1_3repE0EEENS1_48merge_mergepath_partition_config_static_selectorELNS0_4arch9wavefront6targetE1EEEvSN_
; %bb.0:
	.section	.rodata,"a",@progbits
	.p2align	6, 0x0
	.amdhsa_kernel _ZN7rocprim17ROCPRIM_400000_NS6detail17trampoline_kernelINS0_14default_configENS1_38merge_sort_block_merge_config_selectorIN6thrust23THRUST_200600_302600_NS5tupleIffNS6_9null_typeES8_S8_S8_S8_S8_S8_S8_EENS0_10empty_typeEEEZZNS1_27merge_sort_block_merge_implIS3_NS6_6detail15normal_iteratorINS6_10device_ptrIS9_EEEEPSA_mNS6_4lessIS9_EEEE10hipError_tT0_T1_T2_jT3_P12ihipStream_tbPNSt15iterator_traitsISM_E10value_typeEPNSS_ISN_E10value_typeEPSO_NS1_7vsmem_tEENKUlT_SM_SN_SO_E_clIPS9_SH_SI_SI_EESL_S11_SM_SN_SO_EUlS11_E_NS1_11comp_targetILNS1_3genE2ELNS1_11target_archE906ELNS1_3gpuE6ELNS1_3repE0EEENS1_48merge_mergepath_partition_config_static_selectorELNS0_4arch9wavefront6targetE1EEEvSN_
		.amdhsa_group_segment_fixed_size 0
		.amdhsa_private_segment_fixed_size 0
		.amdhsa_kernarg_size 48
		.amdhsa_user_sgpr_count 2
		.amdhsa_user_sgpr_dispatch_ptr 0
		.amdhsa_user_sgpr_queue_ptr 0
		.amdhsa_user_sgpr_kernarg_segment_ptr 1
		.amdhsa_user_sgpr_dispatch_id 0
		.amdhsa_user_sgpr_kernarg_preload_length 0
		.amdhsa_user_sgpr_kernarg_preload_offset 0
		.amdhsa_user_sgpr_private_segment_size 0
		.amdhsa_uses_dynamic_stack 0
		.amdhsa_enable_private_segment 0
		.amdhsa_system_sgpr_workgroup_id_x 1
		.amdhsa_system_sgpr_workgroup_id_y 0
		.amdhsa_system_sgpr_workgroup_id_z 0
		.amdhsa_system_sgpr_workgroup_info 0
		.amdhsa_system_vgpr_workitem_id 0
		.amdhsa_next_free_vgpr 1
		.amdhsa_next_free_sgpr 0
		.amdhsa_accum_offset 4
		.amdhsa_reserve_vcc 0
		.amdhsa_float_round_mode_32 0
		.amdhsa_float_round_mode_16_64 0
		.amdhsa_float_denorm_mode_32 3
		.amdhsa_float_denorm_mode_16_64 3
		.amdhsa_dx10_clamp 1
		.amdhsa_ieee_mode 1
		.amdhsa_fp16_overflow 0
		.amdhsa_tg_split 0
		.amdhsa_exception_fp_ieee_invalid_op 0
		.amdhsa_exception_fp_denorm_src 0
		.amdhsa_exception_fp_ieee_div_zero 0
		.amdhsa_exception_fp_ieee_overflow 0
		.amdhsa_exception_fp_ieee_underflow 0
		.amdhsa_exception_fp_ieee_inexact 0
		.amdhsa_exception_int_div_zero 0
	.end_amdhsa_kernel
	.section	.text._ZN7rocprim17ROCPRIM_400000_NS6detail17trampoline_kernelINS0_14default_configENS1_38merge_sort_block_merge_config_selectorIN6thrust23THRUST_200600_302600_NS5tupleIffNS6_9null_typeES8_S8_S8_S8_S8_S8_S8_EENS0_10empty_typeEEEZZNS1_27merge_sort_block_merge_implIS3_NS6_6detail15normal_iteratorINS6_10device_ptrIS9_EEEEPSA_mNS6_4lessIS9_EEEE10hipError_tT0_T1_T2_jT3_P12ihipStream_tbPNSt15iterator_traitsISM_E10value_typeEPNSS_ISN_E10value_typeEPSO_NS1_7vsmem_tEENKUlT_SM_SN_SO_E_clIPS9_SH_SI_SI_EESL_S11_SM_SN_SO_EUlS11_E_NS1_11comp_targetILNS1_3genE2ELNS1_11target_archE906ELNS1_3gpuE6ELNS1_3repE0EEENS1_48merge_mergepath_partition_config_static_selectorELNS0_4arch9wavefront6targetE1EEEvSN_,"axG",@progbits,_ZN7rocprim17ROCPRIM_400000_NS6detail17trampoline_kernelINS0_14default_configENS1_38merge_sort_block_merge_config_selectorIN6thrust23THRUST_200600_302600_NS5tupleIffNS6_9null_typeES8_S8_S8_S8_S8_S8_S8_EENS0_10empty_typeEEEZZNS1_27merge_sort_block_merge_implIS3_NS6_6detail15normal_iteratorINS6_10device_ptrIS9_EEEEPSA_mNS6_4lessIS9_EEEE10hipError_tT0_T1_T2_jT3_P12ihipStream_tbPNSt15iterator_traitsISM_E10value_typeEPNSS_ISN_E10value_typeEPSO_NS1_7vsmem_tEENKUlT_SM_SN_SO_E_clIPS9_SH_SI_SI_EESL_S11_SM_SN_SO_EUlS11_E_NS1_11comp_targetILNS1_3genE2ELNS1_11target_archE906ELNS1_3gpuE6ELNS1_3repE0EEENS1_48merge_mergepath_partition_config_static_selectorELNS0_4arch9wavefront6targetE1EEEvSN_,comdat
.Lfunc_end32:
	.size	_ZN7rocprim17ROCPRIM_400000_NS6detail17trampoline_kernelINS0_14default_configENS1_38merge_sort_block_merge_config_selectorIN6thrust23THRUST_200600_302600_NS5tupleIffNS6_9null_typeES8_S8_S8_S8_S8_S8_S8_EENS0_10empty_typeEEEZZNS1_27merge_sort_block_merge_implIS3_NS6_6detail15normal_iteratorINS6_10device_ptrIS9_EEEEPSA_mNS6_4lessIS9_EEEE10hipError_tT0_T1_T2_jT3_P12ihipStream_tbPNSt15iterator_traitsISM_E10value_typeEPNSS_ISN_E10value_typeEPSO_NS1_7vsmem_tEENKUlT_SM_SN_SO_E_clIPS9_SH_SI_SI_EESL_S11_SM_SN_SO_EUlS11_E_NS1_11comp_targetILNS1_3genE2ELNS1_11target_archE906ELNS1_3gpuE6ELNS1_3repE0EEENS1_48merge_mergepath_partition_config_static_selectorELNS0_4arch9wavefront6targetE1EEEvSN_, .Lfunc_end32-_ZN7rocprim17ROCPRIM_400000_NS6detail17trampoline_kernelINS0_14default_configENS1_38merge_sort_block_merge_config_selectorIN6thrust23THRUST_200600_302600_NS5tupleIffNS6_9null_typeES8_S8_S8_S8_S8_S8_S8_EENS0_10empty_typeEEEZZNS1_27merge_sort_block_merge_implIS3_NS6_6detail15normal_iteratorINS6_10device_ptrIS9_EEEEPSA_mNS6_4lessIS9_EEEE10hipError_tT0_T1_T2_jT3_P12ihipStream_tbPNSt15iterator_traitsISM_E10value_typeEPNSS_ISN_E10value_typeEPSO_NS1_7vsmem_tEENKUlT_SM_SN_SO_E_clIPS9_SH_SI_SI_EESL_S11_SM_SN_SO_EUlS11_E_NS1_11comp_targetILNS1_3genE2ELNS1_11target_archE906ELNS1_3gpuE6ELNS1_3repE0EEENS1_48merge_mergepath_partition_config_static_selectorELNS0_4arch9wavefront6targetE1EEEvSN_
                                        ; -- End function
	.section	.AMDGPU.csdata,"",@progbits
; Kernel info:
; codeLenInByte = 0
; NumSgprs: 6
; NumVgprs: 0
; NumAgprs: 0
; TotalNumVgprs: 0
; ScratchSize: 0
; MemoryBound: 0
; FloatMode: 240
; IeeeMode: 1
; LDSByteSize: 0 bytes/workgroup (compile time only)
; SGPRBlocks: 0
; VGPRBlocks: 0
; NumSGPRsForWavesPerEU: 6
; NumVGPRsForWavesPerEU: 1
; AccumOffset: 4
; Occupancy: 8
; WaveLimiterHint : 0
; COMPUTE_PGM_RSRC2:SCRATCH_EN: 0
; COMPUTE_PGM_RSRC2:USER_SGPR: 2
; COMPUTE_PGM_RSRC2:TRAP_HANDLER: 0
; COMPUTE_PGM_RSRC2:TGID_X_EN: 1
; COMPUTE_PGM_RSRC2:TGID_Y_EN: 0
; COMPUTE_PGM_RSRC2:TGID_Z_EN: 0
; COMPUTE_PGM_RSRC2:TIDIG_COMP_CNT: 0
; COMPUTE_PGM_RSRC3_GFX90A:ACCUM_OFFSET: 0
; COMPUTE_PGM_RSRC3_GFX90A:TG_SPLIT: 0
	.section	.text._ZN7rocprim17ROCPRIM_400000_NS6detail17trampoline_kernelINS0_14default_configENS1_38merge_sort_block_merge_config_selectorIN6thrust23THRUST_200600_302600_NS5tupleIffNS6_9null_typeES8_S8_S8_S8_S8_S8_S8_EENS0_10empty_typeEEEZZNS1_27merge_sort_block_merge_implIS3_NS6_6detail15normal_iteratorINS6_10device_ptrIS9_EEEEPSA_mNS6_4lessIS9_EEEE10hipError_tT0_T1_T2_jT3_P12ihipStream_tbPNSt15iterator_traitsISM_E10value_typeEPNSS_ISN_E10value_typeEPSO_NS1_7vsmem_tEENKUlT_SM_SN_SO_E_clIPS9_SH_SI_SI_EESL_S11_SM_SN_SO_EUlS11_E_NS1_11comp_targetILNS1_3genE9ELNS1_11target_archE1100ELNS1_3gpuE3ELNS1_3repE0EEENS1_48merge_mergepath_partition_config_static_selectorELNS0_4arch9wavefront6targetE1EEEvSN_,"axG",@progbits,_ZN7rocprim17ROCPRIM_400000_NS6detail17trampoline_kernelINS0_14default_configENS1_38merge_sort_block_merge_config_selectorIN6thrust23THRUST_200600_302600_NS5tupleIffNS6_9null_typeES8_S8_S8_S8_S8_S8_S8_EENS0_10empty_typeEEEZZNS1_27merge_sort_block_merge_implIS3_NS6_6detail15normal_iteratorINS6_10device_ptrIS9_EEEEPSA_mNS6_4lessIS9_EEEE10hipError_tT0_T1_T2_jT3_P12ihipStream_tbPNSt15iterator_traitsISM_E10value_typeEPNSS_ISN_E10value_typeEPSO_NS1_7vsmem_tEENKUlT_SM_SN_SO_E_clIPS9_SH_SI_SI_EESL_S11_SM_SN_SO_EUlS11_E_NS1_11comp_targetILNS1_3genE9ELNS1_11target_archE1100ELNS1_3gpuE3ELNS1_3repE0EEENS1_48merge_mergepath_partition_config_static_selectorELNS0_4arch9wavefront6targetE1EEEvSN_,comdat
	.protected	_ZN7rocprim17ROCPRIM_400000_NS6detail17trampoline_kernelINS0_14default_configENS1_38merge_sort_block_merge_config_selectorIN6thrust23THRUST_200600_302600_NS5tupleIffNS6_9null_typeES8_S8_S8_S8_S8_S8_S8_EENS0_10empty_typeEEEZZNS1_27merge_sort_block_merge_implIS3_NS6_6detail15normal_iteratorINS6_10device_ptrIS9_EEEEPSA_mNS6_4lessIS9_EEEE10hipError_tT0_T1_T2_jT3_P12ihipStream_tbPNSt15iterator_traitsISM_E10value_typeEPNSS_ISN_E10value_typeEPSO_NS1_7vsmem_tEENKUlT_SM_SN_SO_E_clIPS9_SH_SI_SI_EESL_S11_SM_SN_SO_EUlS11_E_NS1_11comp_targetILNS1_3genE9ELNS1_11target_archE1100ELNS1_3gpuE3ELNS1_3repE0EEENS1_48merge_mergepath_partition_config_static_selectorELNS0_4arch9wavefront6targetE1EEEvSN_ ; -- Begin function _ZN7rocprim17ROCPRIM_400000_NS6detail17trampoline_kernelINS0_14default_configENS1_38merge_sort_block_merge_config_selectorIN6thrust23THRUST_200600_302600_NS5tupleIffNS6_9null_typeES8_S8_S8_S8_S8_S8_S8_EENS0_10empty_typeEEEZZNS1_27merge_sort_block_merge_implIS3_NS6_6detail15normal_iteratorINS6_10device_ptrIS9_EEEEPSA_mNS6_4lessIS9_EEEE10hipError_tT0_T1_T2_jT3_P12ihipStream_tbPNSt15iterator_traitsISM_E10value_typeEPNSS_ISN_E10value_typeEPSO_NS1_7vsmem_tEENKUlT_SM_SN_SO_E_clIPS9_SH_SI_SI_EESL_S11_SM_SN_SO_EUlS11_E_NS1_11comp_targetILNS1_3genE9ELNS1_11target_archE1100ELNS1_3gpuE3ELNS1_3repE0EEENS1_48merge_mergepath_partition_config_static_selectorELNS0_4arch9wavefront6targetE1EEEvSN_
	.globl	_ZN7rocprim17ROCPRIM_400000_NS6detail17trampoline_kernelINS0_14default_configENS1_38merge_sort_block_merge_config_selectorIN6thrust23THRUST_200600_302600_NS5tupleIffNS6_9null_typeES8_S8_S8_S8_S8_S8_S8_EENS0_10empty_typeEEEZZNS1_27merge_sort_block_merge_implIS3_NS6_6detail15normal_iteratorINS6_10device_ptrIS9_EEEEPSA_mNS6_4lessIS9_EEEE10hipError_tT0_T1_T2_jT3_P12ihipStream_tbPNSt15iterator_traitsISM_E10value_typeEPNSS_ISN_E10value_typeEPSO_NS1_7vsmem_tEENKUlT_SM_SN_SO_E_clIPS9_SH_SI_SI_EESL_S11_SM_SN_SO_EUlS11_E_NS1_11comp_targetILNS1_3genE9ELNS1_11target_archE1100ELNS1_3gpuE3ELNS1_3repE0EEENS1_48merge_mergepath_partition_config_static_selectorELNS0_4arch9wavefront6targetE1EEEvSN_
	.p2align	8
	.type	_ZN7rocprim17ROCPRIM_400000_NS6detail17trampoline_kernelINS0_14default_configENS1_38merge_sort_block_merge_config_selectorIN6thrust23THRUST_200600_302600_NS5tupleIffNS6_9null_typeES8_S8_S8_S8_S8_S8_S8_EENS0_10empty_typeEEEZZNS1_27merge_sort_block_merge_implIS3_NS6_6detail15normal_iteratorINS6_10device_ptrIS9_EEEEPSA_mNS6_4lessIS9_EEEE10hipError_tT0_T1_T2_jT3_P12ihipStream_tbPNSt15iterator_traitsISM_E10value_typeEPNSS_ISN_E10value_typeEPSO_NS1_7vsmem_tEENKUlT_SM_SN_SO_E_clIPS9_SH_SI_SI_EESL_S11_SM_SN_SO_EUlS11_E_NS1_11comp_targetILNS1_3genE9ELNS1_11target_archE1100ELNS1_3gpuE3ELNS1_3repE0EEENS1_48merge_mergepath_partition_config_static_selectorELNS0_4arch9wavefront6targetE1EEEvSN_,@function
_ZN7rocprim17ROCPRIM_400000_NS6detail17trampoline_kernelINS0_14default_configENS1_38merge_sort_block_merge_config_selectorIN6thrust23THRUST_200600_302600_NS5tupleIffNS6_9null_typeES8_S8_S8_S8_S8_S8_S8_EENS0_10empty_typeEEEZZNS1_27merge_sort_block_merge_implIS3_NS6_6detail15normal_iteratorINS6_10device_ptrIS9_EEEEPSA_mNS6_4lessIS9_EEEE10hipError_tT0_T1_T2_jT3_P12ihipStream_tbPNSt15iterator_traitsISM_E10value_typeEPNSS_ISN_E10value_typeEPSO_NS1_7vsmem_tEENKUlT_SM_SN_SO_E_clIPS9_SH_SI_SI_EESL_S11_SM_SN_SO_EUlS11_E_NS1_11comp_targetILNS1_3genE9ELNS1_11target_archE1100ELNS1_3gpuE3ELNS1_3repE0EEENS1_48merge_mergepath_partition_config_static_selectorELNS0_4arch9wavefront6targetE1EEEvSN_: ; @_ZN7rocprim17ROCPRIM_400000_NS6detail17trampoline_kernelINS0_14default_configENS1_38merge_sort_block_merge_config_selectorIN6thrust23THRUST_200600_302600_NS5tupleIffNS6_9null_typeES8_S8_S8_S8_S8_S8_S8_EENS0_10empty_typeEEEZZNS1_27merge_sort_block_merge_implIS3_NS6_6detail15normal_iteratorINS6_10device_ptrIS9_EEEEPSA_mNS6_4lessIS9_EEEE10hipError_tT0_T1_T2_jT3_P12ihipStream_tbPNSt15iterator_traitsISM_E10value_typeEPNSS_ISN_E10value_typeEPSO_NS1_7vsmem_tEENKUlT_SM_SN_SO_E_clIPS9_SH_SI_SI_EESL_S11_SM_SN_SO_EUlS11_E_NS1_11comp_targetILNS1_3genE9ELNS1_11target_archE1100ELNS1_3gpuE3ELNS1_3repE0EEENS1_48merge_mergepath_partition_config_static_selectorELNS0_4arch9wavefront6targetE1EEEvSN_
; %bb.0:
	.section	.rodata,"a",@progbits
	.p2align	6, 0x0
	.amdhsa_kernel _ZN7rocprim17ROCPRIM_400000_NS6detail17trampoline_kernelINS0_14default_configENS1_38merge_sort_block_merge_config_selectorIN6thrust23THRUST_200600_302600_NS5tupleIffNS6_9null_typeES8_S8_S8_S8_S8_S8_S8_EENS0_10empty_typeEEEZZNS1_27merge_sort_block_merge_implIS3_NS6_6detail15normal_iteratorINS6_10device_ptrIS9_EEEEPSA_mNS6_4lessIS9_EEEE10hipError_tT0_T1_T2_jT3_P12ihipStream_tbPNSt15iterator_traitsISM_E10value_typeEPNSS_ISN_E10value_typeEPSO_NS1_7vsmem_tEENKUlT_SM_SN_SO_E_clIPS9_SH_SI_SI_EESL_S11_SM_SN_SO_EUlS11_E_NS1_11comp_targetILNS1_3genE9ELNS1_11target_archE1100ELNS1_3gpuE3ELNS1_3repE0EEENS1_48merge_mergepath_partition_config_static_selectorELNS0_4arch9wavefront6targetE1EEEvSN_
		.amdhsa_group_segment_fixed_size 0
		.amdhsa_private_segment_fixed_size 0
		.amdhsa_kernarg_size 48
		.amdhsa_user_sgpr_count 2
		.amdhsa_user_sgpr_dispatch_ptr 0
		.amdhsa_user_sgpr_queue_ptr 0
		.amdhsa_user_sgpr_kernarg_segment_ptr 1
		.amdhsa_user_sgpr_dispatch_id 0
		.amdhsa_user_sgpr_kernarg_preload_length 0
		.amdhsa_user_sgpr_kernarg_preload_offset 0
		.amdhsa_user_sgpr_private_segment_size 0
		.amdhsa_uses_dynamic_stack 0
		.amdhsa_enable_private_segment 0
		.amdhsa_system_sgpr_workgroup_id_x 1
		.amdhsa_system_sgpr_workgroup_id_y 0
		.amdhsa_system_sgpr_workgroup_id_z 0
		.amdhsa_system_sgpr_workgroup_info 0
		.amdhsa_system_vgpr_workitem_id 0
		.amdhsa_next_free_vgpr 1
		.amdhsa_next_free_sgpr 0
		.amdhsa_accum_offset 4
		.amdhsa_reserve_vcc 0
		.amdhsa_float_round_mode_32 0
		.amdhsa_float_round_mode_16_64 0
		.amdhsa_float_denorm_mode_32 3
		.amdhsa_float_denorm_mode_16_64 3
		.amdhsa_dx10_clamp 1
		.amdhsa_ieee_mode 1
		.amdhsa_fp16_overflow 0
		.amdhsa_tg_split 0
		.amdhsa_exception_fp_ieee_invalid_op 0
		.amdhsa_exception_fp_denorm_src 0
		.amdhsa_exception_fp_ieee_div_zero 0
		.amdhsa_exception_fp_ieee_overflow 0
		.amdhsa_exception_fp_ieee_underflow 0
		.amdhsa_exception_fp_ieee_inexact 0
		.amdhsa_exception_int_div_zero 0
	.end_amdhsa_kernel
	.section	.text._ZN7rocprim17ROCPRIM_400000_NS6detail17trampoline_kernelINS0_14default_configENS1_38merge_sort_block_merge_config_selectorIN6thrust23THRUST_200600_302600_NS5tupleIffNS6_9null_typeES8_S8_S8_S8_S8_S8_S8_EENS0_10empty_typeEEEZZNS1_27merge_sort_block_merge_implIS3_NS6_6detail15normal_iteratorINS6_10device_ptrIS9_EEEEPSA_mNS6_4lessIS9_EEEE10hipError_tT0_T1_T2_jT3_P12ihipStream_tbPNSt15iterator_traitsISM_E10value_typeEPNSS_ISN_E10value_typeEPSO_NS1_7vsmem_tEENKUlT_SM_SN_SO_E_clIPS9_SH_SI_SI_EESL_S11_SM_SN_SO_EUlS11_E_NS1_11comp_targetILNS1_3genE9ELNS1_11target_archE1100ELNS1_3gpuE3ELNS1_3repE0EEENS1_48merge_mergepath_partition_config_static_selectorELNS0_4arch9wavefront6targetE1EEEvSN_,"axG",@progbits,_ZN7rocprim17ROCPRIM_400000_NS6detail17trampoline_kernelINS0_14default_configENS1_38merge_sort_block_merge_config_selectorIN6thrust23THRUST_200600_302600_NS5tupleIffNS6_9null_typeES8_S8_S8_S8_S8_S8_S8_EENS0_10empty_typeEEEZZNS1_27merge_sort_block_merge_implIS3_NS6_6detail15normal_iteratorINS6_10device_ptrIS9_EEEEPSA_mNS6_4lessIS9_EEEE10hipError_tT0_T1_T2_jT3_P12ihipStream_tbPNSt15iterator_traitsISM_E10value_typeEPNSS_ISN_E10value_typeEPSO_NS1_7vsmem_tEENKUlT_SM_SN_SO_E_clIPS9_SH_SI_SI_EESL_S11_SM_SN_SO_EUlS11_E_NS1_11comp_targetILNS1_3genE9ELNS1_11target_archE1100ELNS1_3gpuE3ELNS1_3repE0EEENS1_48merge_mergepath_partition_config_static_selectorELNS0_4arch9wavefront6targetE1EEEvSN_,comdat
.Lfunc_end33:
	.size	_ZN7rocprim17ROCPRIM_400000_NS6detail17trampoline_kernelINS0_14default_configENS1_38merge_sort_block_merge_config_selectorIN6thrust23THRUST_200600_302600_NS5tupleIffNS6_9null_typeES8_S8_S8_S8_S8_S8_S8_EENS0_10empty_typeEEEZZNS1_27merge_sort_block_merge_implIS3_NS6_6detail15normal_iteratorINS6_10device_ptrIS9_EEEEPSA_mNS6_4lessIS9_EEEE10hipError_tT0_T1_T2_jT3_P12ihipStream_tbPNSt15iterator_traitsISM_E10value_typeEPNSS_ISN_E10value_typeEPSO_NS1_7vsmem_tEENKUlT_SM_SN_SO_E_clIPS9_SH_SI_SI_EESL_S11_SM_SN_SO_EUlS11_E_NS1_11comp_targetILNS1_3genE9ELNS1_11target_archE1100ELNS1_3gpuE3ELNS1_3repE0EEENS1_48merge_mergepath_partition_config_static_selectorELNS0_4arch9wavefront6targetE1EEEvSN_, .Lfunc_end33-_ZN7rocprim17ROCPRIM_400000_NS6detail17trampoline_kernelINS0_14default_configENS1_38merge_sort_block_merge_config_selectorIN6thrust23THRUST_200600_302600_NS5tupleIffNS6_9null_typeES8_S8_S8_S8_S8_S8_S8_EENS0_10empty_typeEEEZZNS1_27merge_sort_block_merge_implIS3_NS6_6detail15normal_iteratorINS6_10device_ptrIS9_EEEEPSA_mNS6_4lessIS9_EEEE10hipError_tT0_T1_T2_jT3_P12ihipStream_tbPNSt15iterator_traitsISM_E10value_typeEPNSS_ISN_E10value_typeEPSO_NS1_7vsmem_tEENKUlT_SM_SN_SO_E_clIPS9_SH_SI_SI_EESL_S11_SM_SN_SO_EUlS11_E_NS1_11comp_targetILNS1_3genE9ELNS1_11target_archE1100ELNS1_3gpuE3ELNS1_3repE0EEENS1_48merge_mergepath_partition_config_static_selectorELNS0_4arch9wavefront6targetE1EEEvSN_
                                        ; -- End function
	.section	.AMDGPU.csdata,"",@progbits
; Kernel info:
; codeLenInByte = 0
; NumSgprs: 6
; NumVgprs: 0
; NumAgprs: 0
; TotalNumVgprs: 0
; ScratchSize: 0
; MemoryBound: 0
; FloatMode: 240
; IeeeMode: 1
; LDSByteSize: 0 bytes/workgroup (compile time only)
; SGPRBlocks: 0
; VGPRBlocks: 0
; NumSGPRsForWavesPerEU: 6
; NumVGPRsForWavesPerEU: 1
; AccumOffset: 4
; Occupancy: 8
; WaveLimiterHint : 0
; COMPUTE_PGM_RSRC2:SCRATCH_EN: 0
; COMPUTE_PGM_RSRC2:USER_SGPR: 2
; COMPUTE_PGM_RSRC2:TRAP_HANDLER: 0
; COMPUTE_PGM_RSRC2:TGID_X_EN: 1
; COMPUTE_PGM_RSRC2:TGID_Y_EN: 0
; COMPUTE_PGM_RSRC2:TGID_Z_EN: 0
; COMPUTE_PGM_RSRC2:TIDIG_COMP_CNT: 0
; COMPUTE_PGM_RSRC3_GFX90A:ACCUM_OFFSET: 0
; COMPUTE_PGM_RSRC3_GFX90A:TG_SPLIT: 0
	.section	.text._ZN7rocprim17ROCPRIM_400000_NS6detail17trampoline_kernelINS0_14default_configENS1_38merge_sort_block_merge_config_selectorIN6thrust23THRUST_200600_302600_NS5tupleIffNS6_9null_typeES8_S8_S8_S8_S8_S8_S8_EENS0_10empty_typeEEEZZNS1_27merge_sort_block_merge_implIS3_NS6_6detail15normal_iteratorINS6_10device_ptrIS9_EEEEPSA_mNS6_4lessIS9_EEEE10hipError_tT0_T1_T2_jT3_P12ihipStream_tbPNSt15iterator_traitsISM_E10value_typeEPNSS_ISN_E10value_typeEPSO_NS1_7vsmem_tEENKUlT_SM_SN_SO_E_clIPS9_SH_SI_SI_EESL_S11_SM_SN_SO_EUlS11_E_NS1_11comp_targetILNS1_3genE8ELNS1_11target_archE1030ELNS1_3gpuE2ELNS1_3repE0EEENS1_48merge_mergepath_partition_config_static_selectorELNS0_4arch9wavefront6targetE1EEEvSN_,"axG",@progbits,_ZN7rocprim17ROCPRIM_400000_NS6detail17trampoline_kernelINS0_14default_configENS1_38merge_sort_block_merge_config_selectorIN6thrust23THRUST_200600_302600_NS5tupleIffNS6_9null_typeES8_S8_S8_S8_S8_S8_S8_EENS0_10empty_typeEEEZZNS1_27merge_sort_block_merge_implIS3_NS6_6detail15normal_iteratorINS6_10device_ptrIS9_EEEEPSA_mNS6_4lessIS9_EEEE10hipError_tT0_T1_T2_jT3_P12ihipStream_tbPNSt15iterator_traitsISM_E10value_typeEPNSS_ISN_E10value_typeEPSO_NS1_7vsmem_tEENKUlT_SM_SN_SO_E_clIPS9_SH_SI_SI_EESL_S11_SM_SN_SO_EUlS11_E_NS1_11comp_targetILNS1_3genE8ELNS1_11target_archE1030ELNS1_3gpuE2ELNS1_3repE0EEENS1_48merge_mergepath_partition_config_static_selectorELNS0_4arch9wavefront6targetE1EEEvSN_,comdat
	.protected	_ZN7rocprim17ROCPRIM_400000_NS6detail17trampoline_kernelINS0_14default_configENS1_38merge_sort_block_merge_config_selectorIN6thrust23THRUST_200600_302600_NS5tupleIffNS6_9null_typeES8_S8_S8_S8_S8_S8_S8_EENS0_10empty_typeEEEZZNS1_27merge_sort_block_merge_implIS3_NS6_6detail15normal_iteratorINS6_10device_ptrIS9_EEEEPSA_mNS6_4lessIS9_EEEE10hipError_tT0_T1_T2_jT3_P12ihipStream_tbPNSt15iterator_traitsISM_E10value_typeEPNSS_ISN_E10value_typeEPSO_NS1_7vsmem_tEENKUlT_SM_SN_SO_E_clIPS9_SH_SI_SI_EESL_S11_SM_SN_SO_EUlS11_E_NS1_11comp_targetILNS1_3genE8ELNS1_11target_archE1030ELNS1_3gpuE2ELNS1_3repE0EEENS1_48merge_mergepath_partition_config_static_selectorELNS0_4arch9wavefront6targetE1EEEvSN_ ; -- Begin function _ZN7rocprim17ROCPRIM_400000_NS6detail17trampoline_kernelINS0_14default_configENS1_38merge_sort_block_merge_config_selectorIN6thrust23THRUST_200600_302600_NS5tupleIffNS6_9null_typeES8_S8_S8_S8_S8_S8_S8_EENS0_10empty_typeEEEZZNS1_27merge_sort_block_merge_implIS3_NS6_6detail15normal_iteratorINS6_10device_ptrIS9_EEEEPSA_mNS6_4lessIS9_EEEE10hipError_tT0_T1_T2_jT3_P12ihipStream_tbPNSt15iterator_traitsISM_E10value_typeEPNSS_ISN_E10value_typeEPSO_NS1_7vsmem_tEENKUlT_SM_SN_SO_E_clIPS9_SH_SI_SI_EESL_S11_SM_SN_SO_EUlS11_E_NS1_11comp_targetILNS1_3genE8ELNS1_11target_archE1030ELNS1_3gpuE2ELNS1_3repE0EEENS1_48merge_mergepath_partition_config_static_selectorELNS0_4arch9wavefront6targetE1EEEvSN_
	.globl	_ZN7rocprim17ROCPRIM_400000_NS6detail17trampoline_kernelINS0_14default_configENS1_38merge_sort_block_merge_config_selectorIN6thrust23THRUST_200600_302600_NS5tupleIffNS6_9null_typeES8_S8_S8_S8_S8_S8_S8_EENS0_10empty_typeEEEZZNS1_27merge_sort_block_merge_implIS3_NS6_6detail15normal_iteratorINS6_10device_ptrIS9_EEEEPSA_mNS6_4lessIS9_EEEE10hipError_tT0_T1_T2_jT3_P12ihipStream_tbPNSt15iterator_traitsISM_E10value_typeEPNSS_ISN_E10value_typeEPSO_NS1_7vsmem_tEENKUlT_SM_SN_SO_E_clIPS9_SH_SI_SI_EESL_S11_SM_SN_SO_EUlS11_E_NS1_11comp_targetILNS1_3genE8ELNS1_11target_archE1030ELNS1_3gpuE2ELNS1_3repE0EEENS1_48merge_mergepath_partition_config_static_selectorELNS0_4arch9wavefront6targetE1EEEvSN_
	.p2align	8
	.type	_ZN7rocprim17ROCPRIM_400000_NS6detail17trampoline_kernelINS0_14default_configENS1_38merge_sort_block_merge_config_selectorIN6thrust23THRUST_200600_302600_NS5tupleIffNS6_9null_typeES8_S8_S8_S8_S8_S8_S8_EENS0_10empty_typeEEEZZNS1_27merge_sort_block_merge_implIS3_NS6_6detail15normal_iteratorINS6_10device_ptrIS9_EEEEPSA_mNS6_4lessIS9_EEEE10hipError_tT0_T1_T2_jT3_P12ihipStream_tbPNSt15iterator_traitsISM_E10value_typeEPNSS_ISN_E10value_typeEPSO_NS1_7vsmem_tEENKUlT_SM_SN_SO_E_clIPS9_SH_SI_SI_EESL_S11_SM_SN_SO_EUlS11_E_NS1_11comp_targetILNS1_3genE8ELNS1_11target_archE1030ELNS1_3gpuE2ELNS1_3repE0EEENS1_48merge_mergepath_partition_config_static_selectorELNS0_4arch9wavefront6targetE1EEEvSN_,@function
_ZN7rocprim17ROCPRIM_400000_NS6detail17trampoline_kernelINS0_14default_configENS1_38merge_sort_block_merge_config_selectorIN6thrust23THRUST_200600_302600_NS5tupleIffNS6_9null_typeES8_S8_S8_S8_S8_S8_S8_EENS0_10empty_typeEEEZZNS1_27merge_sort_block_merge_implIS3_NS6_6detail15normal_iteratorINS6_10device_ptrIS9_EEEEPSA_mNS6_4lessIS9_EEEE10hipError_tT0_T1_T2_jT3_P12ihipStream_tbPNSt15iterator_traitsISM_E10value_typeEPNSS_ISN_E10value_typeEPSO_NS1_7vsmem_tEENKUlT_SM_SN_SO_E_clIPS9_SH_SI_SI_EESL_S11_SM_SN_SO_EUlS11_E_NS1_11comp_targetILNS1_3genE8ELNS1_11target_archE1030ELNS1_3gpuE2ELNS1_3repE0EEENS1_48merge_mergepath_partition_config_static_selectorELNS0_4arch9wavefront6targetE1EEEvSN_: ; @_ZN7rocprim17ROCPRIM_400000_NS6detail17trampoline_kernelINS0_14default_configENS1_38merge_sort_block_merge_config_selectorIN6thrust23THRUST_200600_302600_NS5tupleIffNS6_9null_typeES8_S8_S8_S8_S8_S8_S8_EENS0_10empty_typeEEEZZNS1_27merge_sort_block_merge_implIS3_NS6_6detail15normal_iteratorINS6_10device_ptrIS9_EEEEPSA_mNS6_4lessIS9_EEEE10hipError_tT0_T1_T2_jT3_P12ihipStream_tbPNSt15iterator_traitsISM_E10value_typeEPNSS_ISN_E10value_typeEPSO_NS1_7vsmem_tEENKUlT_SM_SN_SO_E_clIPS9_SH_SI_SI_EESL_S11_SM_SN_SO_EUlS11_E_NS1_11comp_targetILNS1_3genE8ELNS1_11target_archE1030ELNS1_3gpuE2ELNS1_3repE0EEENS1_48merge_mergepath_partition_config_static_selectorELNS0_4arch9wavefront6targetE1EEEvSN_
; %bb.0:
	.section	.rodata,"a",@progbits
	.p2align	6, 0x0
	.amdhsa_kernel _ZN7rocprim17ROCPRIM_400000_NS6detail17trampoline_kernelINS0_14default_configENS1_38merge_sort_block_merge_config_selectorIN6thrust23THRUST_200600_302600_NS5tupleIffNS6_9null_typeES8_S8_S8_S8_S8_S8_S8_EENS0_10empty_typeEEEZZNS1_27merge_sort_block_merge_implIS3_NS6_6detail15normal_iteratorINS6_10device_ptrIS9_EEEEPSA_mNS6_4lessIS9_EEEE10hipError_tT0_T1_T2_jT3_P12ihipStream_tbPNSt15iterator_traitsISM_E10value_typeEPNSS_ISN_E10value_typeEPSO_NS1_7vsmem_tEENKUlT_SM_SN_SO_E_clIPS9_SH_SI_SI_EESL_S11_SM_SN_SO_EUlS11_E_NS1_11comp_targetILNS1_3genE8ELNS1_11target_archE1030ELNS1_3gpuE2ELNS1_3repE0EEENS1_48merge_mergepath_partition_config_static_selectorELNS0_4arch9wavefront6targetE1EEEvSN_
		.amdhsa_group_segment_fixed_size 0
		.amdhsa_private_segment_fixed_size 0
		.amdhsa_kernarg_size 48
		.amdhsa_user_sgpr_count 2
		.amdhsa_user_sgpr_dispatch_ptr 0
		.amdhsa_user_sgpr_queue_ptr 0
		.amdhsa_user_sgpr_kernarg_segment_ptr 1
		.amdhsa_user_sgpr_dispatch_id 0
		.amdhsa_user_sgpr_kernarg_preload_length 0
		.amdhsa_user_sgpr_kernarg_preload_offset 0
		.amdhsa_user_sgpr_private_segment_size 0
		.amdhsa_uses_dynamic_stack 0
		.amdhsa_enable_private_segment 0
		.amdhsa_system_sgpr_workgroup_id_x 1
		.amdhsa_system_sgpr_workgroup_id_y 0
		.amdhsa_system_sgpr_workgroup_id_z 0
		.amdhsa_system_sgpr_workgroup_info 0
		.amdhsa_system_vgpr_workitem_id 0
		.amdhsa_next_free_vgpr 1
		.amdhsa_next_free_sgpr 0
		.amdhsa_accum_offset 4
		.amdhsa_reserve_vcc 0
		.amdhsa_float_round_mode_32 0
		.amdhsa_float_round_mode_16_64 0
		.amdhsa_float_denorm_mode_32 3
		.amdhsa_float_denorm_mode_16_64 3
		.amdhsa_dx10_clamp 1
		.amdhsa_ieee_mode 1
		.amdhsa_fp16_overflow 0
		.amdhsa_tg_split 0
		.amdhsa_exception_fp_ieee_invalid_op 0
		.amdhsa_exception_fp_denorm_src 0
		.amdhsa_exception_fp_ieee_div_zero 0
		.amdhsa_exception_fp_ieee_overflow 0
		.amdhsa_exception_fp_ieee_underflow 0
		.amdhsa_exception_fp_ieee_inexact 0
		.amdhsa_exception_int_div_zero 0
	.end_amdhsa_kernel
	.section	.text._ZN7rocprim17ROCPRIM_400000_NS6detail17trampoline_kernelINS0_14default_configENS1_38merge_sort_block_merge_config_selectorIN6thrust23THRUST_200600_302600_NS5tupleIffNS6_9null_typeES8_S8_S8_S8_S8_S8_S8_EENS0_10empty_typeEEEZZNS1_27merge_sort_block_merge_implIS3_NS6_6detail15normal_iteratorINS6_10device_ptrIS9_EEEEPSA_mNS6_4lessIS9_EEEE10hipError_tT0_T1_T2_jT3_P12ihipStream_tbPNSt15iterator_traitsISM_E10value_typeEPNSS_ISN_E10value_typeEPSO_NS1_7vsmem_tEENKUlT_SM_SN_SO_E_clIPS9_SH_SI_SI_EESL_S11_SM_SN_SO_EUlS11_E_NS1_11comp_targetILNS1_3genE8ELNS1_11target_archE1030ELNS1_3gpuE2ELNS1_3repE0EEENS1_48merge_mergepath_partition_config_static_selectorELNS0_4arch9wavefront6targetE1EEEvSN_,"axG",@progbits,_ZN7rocprim17ROCPRIM_400000_NS6detail17trampoline_kernelINS0_14default_configENS1_38merge_sort_block_merge_config_selectorIN6thrust23THRUST_200600_302600_NS5tupleIffNS6_9null_typeES8_S8_S8_S8_S8_S8_S8_EENS0_10empty_typeEEEZZNS1_27merge_sort_block_merge_implIS3_NS6_6detail15normal_iteratorINS6_10device_ptrIS9_EEEEPSA_mNS6_4lessIS9_EEEE10hipError_tT0_T1_T2_jT3_P12ihipStream_tbPNSt15iterator_traitsISM_E10value_typeEPNSS_ISN_E10value_typeEPSO_NS1_7vsmem_tEENKUlT_SM_SN_SO_E_clIPS9_SH_SI_SI_EESL_S11_SM_SN_SO_EUlS11_E_NS1_11comp_targetILNS1_3genE8ELNS1_11target_archE1030ELNS1_3gpuE2ELNS1_3repE0EEENS1_48merge_mergepath_partition_config_static_selectorELNS0_4arch9wavefront6targetE1EEEvSN_,comdat
.Lfunc_end34:
	.size	_ZN7rocprim17ROCPRIM_400000_NS6detail17trampoline_kernelINS0_14default_configENS1_38merge_sort_block_merge_config_selectorIN6thrust23THRUST_200600_302600_NS5tupleIffNS6_9null_typeES8_S8_S8_S8_S8_S8_S8_EENS0_10empty_typeEEEZZNS1_27merge_sort_block_merge_implIS3_NS6_6detail15normal_iteratorINS6_10device_ptrIS9_EEEEPSA_mNS6_4lessIS9_EEEE10hipError_tT0_T1_T2_jT3_P12ihipStream_tbPNSt15iterator_traitsISM_E10value_typeEPNSS_ISN_E10value_typeEPSO_NS1_7vsmem_tEENKUlT_SM_SN_SO_E_clIPS9_SH_SI_SI_EESL_S11_SM_SN_SO_EUlS11_E_NS1_11comp_targetILNS1_3genE8ELNS1_11target_archE1030ELNS1_3gpuE2ELNS1_3repE0EEENS1_48merge_mergepath_partition_config_static_selectorELNS0_4arch9wavefront6targetE1EEEvSN_, .Lfunc_end34-_ZN7rocprim17ROCPRIM_400000_NS6detail17trampoline_kernelINS0_14default_configENS1_38merge_sort_block_merge_config_selectorIN6thrust23THRUST_200600_302600_NS5tupleIffNS6_9null_typeES8_S8_S8_S8_S8_S8_S8_EENS0_10empty_typeEEEZZNS1_27merge_sort_block_merge_implIS3_NS6_6detail15normal_iteratorINS6_10device_ptrIS9_EEEEPSA_mNS6_4lessIS9_EEEE10hipError_tT0_T1_T2_jT3_P12ihipStream_tbPNSt15iterator_traitsISM_E10value_typeEPNSS_ISN_E10value_typeEPSO_NS1_7vsmem_tEENKUlT_SM_SN_SO_E_clIPS9_SH_SI_SI_EESL_S11_SM_SN_SO_EUlS11_E_NS1_11comp_targetILNS1_3genE8ELNS1_11target_archE1030ELNS1_3gpuE2ELNS1_3repE0EEENS1_48merge_mergepath_partition_config_static_selectorELNS0_4arch9wavefront6targetE1EEEvSN_
                                        ; -- End function
	.section	.AMDGPU.csdata,"",@progbits
; Kernel info:
; codeLenInByte = 0
; NumSgprs: 6
; NumVgprs: 0
; NumAgprs: 0
; TotalNumVgprs: 0
; ScratchSize: 0
; MemoryBound: 0
; FloatMode: 240
; IeeeMode: 1
; LDSByteSize: 0 bytes/workgroup (compile time only)
; SGPRBlocks: 0
; VGPRBlocks: 0
; NumSGPRsForWavesPerEU: 6
; NumVGPRsForWavesPerEU: 1
; AccumOffset: 4
; Occupancy: 8
; WaveLimiterHint : 0
; COMPUTE_PGM_RSRC2:SCRATCH_EN: 0
; COMPUTE_PGM_RSRC2:USER_SGPR: 2
; COMPUTE_PGM_RSRC2:TRAP_HANDLER: 0
; COMPUTE_PGM_RSRC2:TGID_X_EN: 1
; COMPUTE_PGM_RSRC2:TGID_Y_EN: 0
; COMPUTE_PGM_RSRC2:TGID_Z_EN: 0
; COMPUTE_PGM_RSRC2:TIDIG_COMP_CNT: 0
; COMPUTE_PGM_RSRC3_GFX90A:ACCUM_OFFSET: 0
; COMPUTE_PGM_RSRC3_GFX90A:TG_SPLIT: 0
	.section	.text._ZN7rocprim17ROCPRIM_400000_NS6detail17trampoline_kernelINS0_14default_configENS1_38merge_sort_block_merge_config_selectorIN6thrust23THRUST_200600_302600_NS5tupleIffNS6_9null_typeES8_S8_S8_S8_S8_S8_S8_EENS0_10empty_typeEEEZZNS1_27merge_sort_block_merge_implIS3_NS6_6detail15normal_iteratorINS6_10device_ptrIS9_EEEEPSA_mNS6_4lessIS9_EEEE10hipError_tT0_T1_T2_jT3_P12ihipStream_tbPNSt15iterator_traitsISM_E10value_typeEPNSS_ISN_E10value_typeEPSO_NS1_7vsmem_tEENKUlT_SM_SN_SO_E_clIPS9_SH_SI_SI_EESL_S11_SM_SN_SO_EUlS11_E0_NS1_11comp_targetILNS1_3genE0ELNS1_11target_archE4294967295ELNS1_3gpuE0ELNS1_3repE0EEENS1_38merge_mergepath_config_static_selectorELNS0_4arch9wavefront6targetE1EEEvSN_,"axG",@progbits,_ZN7rocprim17ROCPRIM_400000_NS6detail17trampoline_kernelINS0_14default_configENS1_38merge_sort_block_merge_config_selectorIN6thrust23THRUST_200600_302600_NS5tupleIffNS6_9null_typeES8_S8_S8_S8_S8_S8_S8_EENS0_10empty_typeEEEZZNS1_27merge_sort_block_merge_implIS3_NS6_6detail15normal_iteratorINS6_10device_ptrIS9_EEEEPSA_mNS6_4lessIS9_EEEE10hipError_tT0_T1_T2_jT3_P12ihipStream_tbPNSt15iterator_traitsISM_E10value_typeEPNSS_ISN_E10value_typeEPSO_NS1_7vsmem_tEENKUlT_SM_SN_SO_E_clIPS9_SH_SI_SI_EESL_S11_SM_SN_SO_EUlS11_E0_NS1_11comp_targetILNS1_3genE0ELNS1_11target_archE4294967295ELNS1_3gpuE0ELNS1_3repE0EEENS1_38merge_mergepath_config_static_selectorELNS0_4arch9wavefront6targetE1EEEvSN_,comdat
	.protected	_ZN7rocprim17ROCPRIM_400000_NS6detail17trampoline_kernelINS0_14default_configENS1_38merge_sort_block_merge_config_selectorIN6thrust23THRUST_200600_302600_NS5tupleIffNS6_9null_typeES8_S8_S8_S8_S8_S8_S8_EENS0_10empty_typeEEEZZNS1_27merge_sort_block_merge_implIS3_NS6_6detail15normal_iteratorINS6_10device_ptrIS9_EEEEPSA_mNS6_4lessIS9_EEEE10hipError_tT0_T1_T2_jT3_P12ihipStream_tbPNSt15iterator_traitsISM_E10value_typeEPNSS_ISN_E10value_typeEPSO_NS1_7vsmem_tEENKUlT_SM_SN_SO_E_clIPS9_SH_SI_SI_EESL_S11_SM_SN_SO_EUlS11_E0_NS1_11comp_targetILNS1_3genE0ELNS1_11target_archE4294967295ELNS1_3gpuE0ELNS1_3repE0EEENS1_38merge_mergepath_config_static_selectorELNS0_4arch9wavefront6targetE1EEEvSN_ ; -- Begin function _ZN7rocprim17ROCPRIM_400000_NS6detail17trampoline_kernelINS0_14default_configENS1_38merge_sort_block_merge_config_selectorIN6thrust23THRUST_200600_302600_NS5tupleIffNS6_9null_typeES8_S8_S8_S8_S8_S8_S8_EENS0_10empty_typeEEEZZNS1_27merge_sort_block_merge_implIS3_NS6_6detail15normal_iteratorINS6_10device_ptrIS9_EEEEPSA_mNS6_4lessIS9_EEEE10hipError_tT0_T1_T2_jT3_P12ihipStream_tbPNSt15iterator_traitsISM_E10value_typeEPNSS_ISN_E10value_typeEPSO_NS1_7vsmem_tEENKUlT_SM_SN_SO_E_clIPS9_SH_SI_SI_EESL_S11_SM_SN_SO_EUlS11_E0_NS1_11comp_targetILNS1_3genE0ELNS1_11target_archE4294967295ELNS1_3gpuE0ELNS1_3repE0EEENS1_38merge_mergepath_config_static_selectorELNS0_4arch9wavefront6targetE1EEEvSN_
	.globl	_ZN7rocprim17ROCPRIM_400000_NS6detail17trampoline_kernelINS0_14default_configENS1_38merge_sort_block_merge_config_selectorIN6thrust23THRUST_200600_302600_NS5tupleIffNS6_9null_typeES8_S8_S8_S8_S8_S8_S8_EENS0_10empty_typeEEEZZNS1_27merge_sort_block_merge_implIS3_NS6_6detail15normal_iteratorINS6_10device_ptrIS9_EEEEPSA_mNS6_4lessIS9_EEEE10hipError_tT0_T1_T2_jT3_P12ihipStream_tbPNSt15iterator_traitsISM_E10value_typeEPNSS_ISN_E10value_typeEPSO_NS1_7vsmem_tEENKUlT_SM_SN_SO_E_clIPS9_SH_SI_SI_EESL_S11_SM_SN_SO_EUlS11_E0_NS1_11comp_targetILNS1_3genE0ELNS1_11target_archE4294967295ELNS1_3gpuE0ELNS1_3repE0EEENS1_38merge_mergepath_config_static_selectorELNS0_4arch9wavefront6targetE1EEEvSN_
	.p2align	8
	.type	_ZN7rocprim17ROCPRIM_400000_NS6detail17trampoline_kernelINS0_14default_configENS1_38merge_sort_block_merge_config_selectorIN6thrust23THRUST_200600_302600_NS5tupleIffNS6_9null_typeES8_S8_S8_S8_S8_S8_S8_EENS0_10empty_typeEEEZZNS1_27merge_sort_block_merge_implIS3_NS6_6detail15normal_iteratorINS6_10device_ptrIS9_EEEEPSA_mNS6_4lessIS9_EEEE10hipError_tT0_T1_T2_jT3_P12ihipStream_tbPNSt15iterator_traitsISM_E10value_typeEPNSS_ISN_E10value_typeEPSO_NS1_7vsmem_tEENKUlT_SM_SN_SO_E_clIPS9_SH_SI_SI_EESL_S11_SM_SN_SO_EUlS11_E0_NS1_11comp_targetILNS1_3genE0ELNS1_11target_archE4294967295ELNS1_3gpuE0ELNS1_3repE0EEENS1_38merge_mergepath_config_static_selectorELNS0_4arch9wavefront6targetE1EEEvSN_,@function
_ZN7rocprim17ROCPRIM_400000_NS6detail17trampoline_kernelINS0_14default_configENS1_38merge_sort_block_merge_config_selectorIN6thrust23THRUST_200600_302600_NS5tupleIffNS6_9null_typeES8_S8_S8_S8_S8_S8_S8_EENS0_10empty_typeEEEZZNS1_27merge_sort_block_merge_implIS3_NS6_6detail15normal_iteratorINS6_10device_ptrIS9_EEEEPSA_mNS6_4lessIS9_EEEE10hipError_tT0_T1_T2_jT3_P12ihipStream_tbPNSt15iterator_traitsISM_E10value_typeEPNSS_ISN_E10value_typeEPSO_NS1_7vsmem_tEENKUlT_SM_SN_SO_E_clIPS9_SH_SI_SI_EESL_S11_SM_SN_SO_EUlS11_E0_NS1_11comp_targetILNS1_3genE0ELNS1_11target_archE4294967295ELNS1_3gpuE0ELNS1_3repE0EEENS1_38merge_mergepath_config_static_selectorELNS0_4arch9wavefront6targetE1EEEvSN_: ; @_ZN7rocprim17ROCPRIM_400000_NS6detail17trampoline_kernelINS0_14default_configENS1_38merge_sort_block_merge_config_selectorIN6thrust23THRUST_200600_302600_NS5tupleIffNS6_9null_typeES8_S8_S8_S8_S8_S8_S8_EENS0_10empty_typeEEEZZNS1_27merge_sort_block_merge_implIS3_NS6_6detail15normal_iteratorINS6_10device_ptrIS9_EEEEPSA_mNS6_4lessIS9_EEEE10hipError_tT0_T1_T2_jT3_P12ihipStream_tbPNSt15iterator_traitsISM_E10value_typeEPNSS_ISN_E10value_typeEPSO_NS1_7vsmem_tEENKUlT_SM_SN_SO_E_clIPS9_SH_SI_SI_EESL_S11_SM_SN_SO_EUlS11_E0_NS1_11comp_targetILNS1_3genE0ELNS1_11target_archE4294967295ELNS1_3gpuE0ELNS1_3repE0EEENS1_38merge_mergepath_config_static_selectorELNS0_4arch9wavefront6targetE1EEEvSN_
; %bb.0:
	.section	.rodata,"a",@progbits
	.p2align	6, 0x0
	.amdhsa_kernel _ZN7rocprim17ROCPRIM_400000_NS6detail17trampoline_kernelINS0_14default_configENS1_38merge_sort_block_merge_config_selectorIN6thrust23THRUST_200600_302600_NS5tupleIffNS6_9null_typeES8_S8_S8_S8_S8_S8_S8_EENS0_10empty_typeEEEZZNS1_27merge_sort_block_merge_implIS3_NS6_6detail15normal_iteratorINS6_10device_ptrIS9_EEEEPSA_mNS6_4lessIS9_EEEE10hipError_tT0_T1_T2_jT3_P12ihipStream_tbPNSt15iterator_traitsISM_E10value_typeEPNSS_ISN_E10value_typeEPSO_NS1_7vsmem_tEENKUlT_SM_SN_SO_E_clIPS9_SH_SI_SI_EESL_S11_SM_SN_SO_EUlS11_E0_NS1_11comp_targetILNS1_3genE0ELNS1_11target_archE4294967295ELNS1_3gpuE0ELNS1_3repE0EEENS1_38merge_mergepath_config_static_selectorELNS0_4arch9wavefront6targetE1EEEvSN_
		.amdhsa_group_segment_fixed_size 0
		.amdhsa_private_segment_fixed_size 0
		.amdhsa_kernarg_size 72
		.amdhsa_user_sgpr_count 2
		.amdhsa_user_sgpr_dispatch_ptr 0
		.amdhsa_user_sgpr_queue_ptr 0
		.amdhsa_user_sgpr_kernarg_segment_ptr 1
		.amdhsa_user_sgpr_dispatch_id 0
		.amdhsa_user_sgpr_kernarg_preload_length 0
		.amdhsa_user_sgpr_kernarg_preload_offset 0
		.amdhsa_user_sgpr_private_segment_size 0
		.amdhsa_uses_dynamic_stack 0
		.amdhsa_enable_private_segment 0
		.amdhsa_system_sgpr_workgroup_id_x 1
		.amdhsa_system_sgpr_workgroup_id_y 0
		.amdhsa_system_sgpr_workgroup_id_z 0
		.amdhsa_system_sgpr_workgroup_info 0
		.amdhsa_system_vgpr_workitem_id 0
		.amdhsa_next_free_vgpr 1
		.amdhsa_next_free_sgpr 0
		.amdhsa_accum_offset 4
		.amdhsa_reserve_vcc 0
		.amdhsa_float_round_mode_32 0
		.amdhsa_float_round_mode_16_64 0
		.amdhsa_float_denorm_mode_32 3
		.amdhsa_float_denorm_mode_16_64 3
		.amdhsa_dx10_clamp 1
		.amdhsa_ieee_mode 1
		.amdhsa_fp16_overflow 0
		.amdhsa_tg_split 0
		.amdhsa_exception_fp_ieee_invalid_op 0
		.amdhsa_exception_fp_denorm_src 0
		.amdhsa_exception_fp_ieee_div_zero 0
		.amdhsa_exception_fp_ieee_overflow 0
		.amdhsa_exception_fp_ieee_underflow 0
		.amdhsa_exception_fp_ieee_inexact 0
		.amdhsa_exception_int_div_zero 0
	.end_amdhsa_kernel
	.section	.text._ZN7rocprim17ROCPRIM_400000_NS6detail17trampoline_kernelINS0_14default_configENS1_38merge_sort_block_merge_config_selectorIN6thrust23THRUST_200600_302600_NS5tupleIffNS6_9null_typeES8_S8_S8_S8_S8_S8_S8_EENS0_10empty_typeEEEZZNS1_27merge_sort_block_merge_implIS3_NS6_6detail15normal_iteratorINS6_10device_ptrIS9_EEEEPSA_mNS6_4lessIS9_EEEE10hipError_tT0_T1_T2_jT3_P12ihipStream_tbPNSt15iterator_traitsISM_E10value_typeEPNSS_ISN_E10value_typeEPSO_NS1_7vsmem_tEENKUlT_SM_SN_SO_E_clIPS9_SH_SI_SI_EESL_S11_SM_SN_SO_EUlS11_E0_NS1_11comp_targetILNS1_3genE0ELNS1_11target_archE4294967295ELNS1_3gpuE0ELNS1_3repE0EEENS1_38merge_mergepath_config_static_selectorELNS0_4arch9wavefront6targetE1EEEvSN_,"axG",@progbits,_ZN7rocprim17ROCPRIM_400000_NS6detail17trampoline_kernelINS0_14default_configENS1_38merge_sort_block_merge_config_selectorIN6thrust23THRUST_200600_302600_NS5tupleIffNS6_9null_typeES8_S8_S8_S8_S8_S8_S8_EENS0_10empty_typeEEEZZNS1_27merge_sort_block_merge_implIS3_NS6_6detail15normal_iteratorINS6_10device_ptrIS9_EEEEPSA_mNS6_4lessIS9_EEEE10hipError_tT0_T1_T2_jT3_P12ihipStream_tbPNSt15iterator_traitsISM_E10value_typeEPNSS_ISN_E10value_typeEPSO_NS1_7vsmem_tEENKUlT_SM_SN_SO_E_clIPS9_SH_SI_SI_EESL_S11_SM_SN_SO_EUlS11_E0_NS1_11comp_targetILNS1_3genE0ELNS1_11target_archE4294967295ELNS1_3gpuE0ELNS1_3repE0EEENS1_38merge_mergepath_config_static_selectorELNS0_4arch9wavefront6targetE1EEEvSN_,comdat
.Lfunc_end35:
	.size	_ZN7rocprim17ROCPRIM_400000_NS6detail17trampoline_kernelINS0_14default_configENS1_38merge_sort_block_merge_config_selectorIN6thrust23THRUST_200600_302600_NS5tupleIffNS6_9null_typeES8_S8_S8_S8_S8_S8_S8_EENS0_10empty_typeEEEZZNS1_27merge_sort_block_merge_implIS3_NS6_6detail15normal_iteratorINS6_10device_ptrIS9_EEEEPSA_mNS6_4lessIS9_EEEE10hipError_tT0_T1_T2_jT3_P12ihipStream_tbPNSt15iterator_traitsISM_E10value_typeEPNSS_ISN_E10value_typeEPSO_NS1_7vsmem_tEENKUlT_SM_SN_SO_E_clIPS9_SH_SI_SI_EESL_S11_SM_SN_SO_EUlS11_E0_NS1_11comp_targetILNS1_3genE0ELNS1_11target_archE4294967295ELNS1_3gpuE0ELNS1_3repE0EEENS1_38merge_mergepath_config_static_selectorELNS0_4arch9wavefront6targetE1EEEvSN_, .Lfunc_end35-_ZN7rocprim17ROCPRIM_400000_NS6detail17trampoline_kernelINS0_14default_configENS1_38merge_sort_block_merge_config_selectorIN6thrust23THRUST_200600_302600_NS5tupleIffNS6_9null_typeES8_S8_S8_S8_S8_S8_S8_EENS0_10empty_typeEEEZZNS1_27merge_sort_block_merge_implIS3_NS6_6detail15normal_iteratorINS6_10device_ptrIS9_EEEEPSA_mNS6_4lessIS9_EEEE10hipError_tT0_T1_T2_jT3_P12ihipStream_tbPNSt15iterator_traitsISM_E10value_typeEPNSS_ISN_E10value_typeEPSO_NS1_7vsmem_tEENKUlT_SM_SN_SO_E_clIPS9_SH_SI_SI_EESL_S11_SM_SN_SO_EUlS11_E0_NS1_11comp_targetILNS1_3genE0ELNS1_11target_archE4294967295ELNS1_3gpuE0ELNS1_3repE0EEENS1_38merge_mergepath_config_static_selectorELNS0_4arch9wavefront6targetE1EEEvSN_
                                        ; -- End function
	.section	.AMDGPU.csdata,"",@progbits
; Kernel info:
; codeLenInByte = 0
; NumSgprs: 6
; NumVgprs: 0
; NumAgprs: 0
; TotalNumVgprs: 0
; ScratchSize: 0
; MemoryBound: 0
; FloatMode: 240
; IeeeMode: 1
; LDSByteSize: 0 bytes/workgroup (compile time only)
; SGPRBlocks: 0
; VGPRBlocks: 0
; NumSGPRsForWavesPerEU: 6
; NumVGPRsForWavesPerEU: 1
; AccumOffset: 4
; Occupancy: 8
; WaveLimiterHint : 0
; COMPUTE_PGM_RSRC2:SCRATCH_EN: 0
; COMPUTE_PGM_RSRC2:USER_SGPR: 2
; COMPUTE_PGM_RSRC2:TRAP_HANDLER: 0
; COMPUTE_PGM_RSRC2:TGID_X_EN: 1
; COMPUTE_PGM_RSRC2:TGID_Y_EN: 0
; COMPUTE_PGM_RSRC2:TGID_Z_EN: 0
; COMPUTE_PGM_RSRC2:TIDIG_COMP_CNT: 0
; COMPUTE_PGM_RSRC3_GFX90A:ACCUM_OFFSET: 0
; COMPUTE_PGM_RSRC3_GFX90A:TG_SPLIT: 0
	.section	.text._ZN7rocprim17ROCPRIM_400000_NS6detail17trampoline_kernelINS0_14default_configENS1_38merge_sort_block_merge_config_selectorIN6thrust23THRUST_200600_302600_NS5tupleIffNS6_9null_typeES8_S8_S8_S8_S8_S8_S8_EENS0_10empty_typeEEEZZNS1_27merge_sort_block_merge_implIS3_NS6_6detail15normal_iteratorINS6_10device_ptrIS9_EEEEPSA_mNS6_4lessIS9_EEEE10hipError_tT0_T1_T2_jT3_P12ihipStream_tbPNSt15iterator_traitsISM_E10value_typeEPNSS_ISN_E10value_typeEPSO_NS1_7vsmem_tEENKUlT_SM_SN_SO_E_clIPS9_SH_SI_SI_EESL_S11_SM_SN_SO_EUlS11_E0_NS1_11comp_targetILNS1_3genE10ELNS1_11target_archE1201ELNS1_3gpuE5ELNS1_3repE0EEENS1_38merge_mergepath_config_static_selectorELNS0_4arch9wavefront6targetE1EEEvSN_,"axG",@progbits,_ZN7rocprim17ROCPRIM_400000_NS6detail17trampoline_kernelINS0_14default_configENS1_38merge_sort_block_merge_config_selectorIN6thrust23THRUST_200600_302600_NS5tupleIffNS6_9null_typeES8_S8_S8_S8_S8_S8_S8_EENS0_10empty_typeEEEZZNS1_27merge_sort_block_merge_implIS3_NS6_6detail15normal_iteratorINS6_10device_ptrIS9_EEEEPSA_mNS6_4lessIS9_EEEE10hipError_tT0_T1_T2_jT3_P12ihipStream_tbPNSt15iterator_traitsISM_E10value_typeEPNSS_ISN_E10value_typeEPSO_NS1_7vsmem_tEENKUlT_SM_SN_SO_E_clIPS9_SH_SI_SI_EESL_S11_SM_SN_SO_EUlS11_E0_NS1_11comp_targetILNS1_3genE10ELNS1_11target_archE1201ELNS1_3gpuE5ELNS1_3repE0EEENS1_38merge_mergepath_config_static_selectorELNS0_4arch9wavefront6targetE1EEEvSN_,comdat
	.protected	_ZN7rocprim17ROCPRIM_400000_NS6detail17trampoline_kernelINS0_14default_configENS1_38merge_sort_block_merge_config_selectorIN6thrust23THRUST_200600_302600_NS5tupleIffNS6_9null_typeES8_S8_S8_S8_S8_S8_S8_EENS0_10empty_typeEEEZZNS1_27merge_sort_block_merge_implIS3_NS6_6detail15normal_iteratorINS6_10device_ptrIS9_EEEEPSA_mNS6_4lessIS9_EEEE10hipError_tT0_T1_T2_jT3_P12ihipStream_tbPNSt15iterator_traitsISM_E10value_typeEPNSS_ISN_E10value_typeEPSO_NS1_7vsmem_tEENKUlT_SM_SN_SO_E_clIPS9_SH_SI_SI_EESL_S11_SM_SN_SO_EUlS11_E0_NS1_11comp_targetILNS1_3genE10ELNS1_11target_archE1201ELNS1_3gpuE5ELNS1_3repE0EEENS1_38merge_mergepath_config_static_selectorELNS0_4arch9wavefront6targetE1EEEvSN_ ; -- Begin function _ZN7rocprim17ROCPRIM_400000_NS6detail17trampoline_kernelINS0_14default_configENS1_38merge_sort_block_merge_config_selectorIN6thrust23THRUST_200600_302600_NS5tupleIffNS6_9null_typeES8_S8_S8_S8_S8_S8_S8_EENS0_10empty_typeEEEZZNS1_27merge_sort_block_merge_implIS3_NS6_6detail15normal_iteratorINS6_10device_ptrIS9_EEEEPSA_mNS6_4lessIS9_EEEE10hipError_tT0_T1_T2_jT3_P12ihipStream_tbPNSt15iterator_traitsISM_E10value_typeEPNSS_ISN_E10value_typeEPSO_NS1_7vsmem_tEENKUlT_SM_SN_SO_E_clIPS9_SH_SI_SI_EESL_S11_SM_SN_SO_EUlS11_E0_NS1_11comp_targetILNS1_3genE10ELNS1_11target_archE1201ELNS1_3gpuE5ELNS1_3repE0EEENS1_38merge_mergepath_config_static_selectorELNS0_4arch9wavefront6targetE1EEEvSN_
	.globl	_ZN7rocprim17ROCPRIM_400000_NS6detail17trampoline_kernelINS0_14default_configENS1_38merge_sort_block_merge_config_selectorIN6thrust23THRUST_200600_302600_NS5tupleIffNS6_9null_typeES8_S8_S8_S8_S8_S8_S8_EENS0_10empty_typeEEEZZNS1_27merge_sort_block_merge_implIS3_NS6_6detail15normal_iteratorINS6_10device_ptrIS9_EEEEPSA_mNS6_4lessIS9_EEEE10hipError_tT0_T1_T2_jT3_P12ihipStream_tbPNSt15iterator_traitsISM_E10value_typeEPNSS_ISN_E10value_typeEPSO_NS1_7vsmem_tEENKUlT_SM_SN_SO_E_clIPS9_SH_SI_SI_EESL_S11_SM_SN_SO_EUlS11_E0_NS1_11comp_targetILNS1_3genE10ELNS1_11target_archE1201ELNS1_3gpuE5ELNS1_3repE0EEENS1_38merge_mergepath_config_static_selectorELNS0_4arch9wavefront6targetE1EEEvSN_
	.p2align	8
	.type	_ZN7rocprim17ROCPRIM_400000_NS6detail17trampoline_kernelINS0_14default_configENS1_38merge_sort_block_merge_config_selectorIN6thrust23THRUST_200600_302600_NS5tupleIffNS6_9null_typeES8_S8_S8_S8_S8_S8_S8_EENS0_10empty_typeEEEZZNS1_27merge_sort_block_merge_implIS3_NS6_6detail15normal_iteratorINS6_10device_ptrIS9_EEEEPSA_mNS6_4lessIS9_EEEE10hipError_tT0_T1_T2_jT3_P12ihipStream_tbPNSt15iterator_traitsISM_E10value_typeEPNSS_ISN_E10value_typeEPSO_NS1_7vsmem_tEENKUlT_SM_SN_SO_E_clIPS9_SH_SI_SI_EESL_S11_SM_SN_SO_EUlS11_E0_NS1_11comp_targetILNS1_3genE10ELNS1_11target_archE1201ELNS1_3gpuE5ELNS1_3repE0EEENS1_38merge_mergepath_config_static_selectorELNS0_4arch9wavefront6targetE1EEEvSN_,@function
_ZN7rocprim17ROCPRIM_400000_NS6detail17trampoline_kernelINS0_14default_configENS1_38merge_sort_block_merge_config_selectorIN6thrust23THRUST_200600_302600_NS5tupleIffNS6_9null_typeES8_S8_S8_S8_S8_S8_S8_EENS0_10empty_typeEEEZZNS1_27merge_sort_block_merge_implIS3_NS6_6detail15normal_iteratorINS6_10device_ptrIS9_EEEEPSA_mNS6_4lessIS9_EEEE10hipError_tT0_T1_T2_jT3_P12ihipStream_tbPNSt15iterator_traitsISM_E10value_typeEPNSS_ISN_E10value_typeEPSO_NS1_7vsmem_tEENKUlT_SM_SN_SO_E_clIPS9_SH_SI_SI_EESL_S11_SM_SN_SO_EUlS11_E0_NS1_11comp_targetILNS1_3genE10ELNS1_11target_archE1201ELNS1_3gpuE5ELNS1_3repE0EEENS1_38merge_mergepath_config_static_selectorELNS0_4arch9wavefront6targetE1EEEvSN_: ; @_ZN7rocprim17ROCPRIM_400000_NS6detail17trampoline_kernelINS0_14default_configENS1_38merge_sort_block_merge_config_selectorIN6thrust23THRUST_200600_302600_NS5tupleIffNS6_9null_typeES8_S8_S8_S8_S8_S8_S8_EENS0_10empty_typeEEEZZNS1_27merge_sort_block_merge_implIS3_NS6_6detail15normal_iteratorINS6_10device_ptrIS9_EEEEPSA_mNS6_4lessIS9_EEEE10hipError_tT0_T1_T2_jT3_P12ihipStream_tbPNSt15iterator_traitsISM_E10value_typeEPNSS_ISN_E10value_typeEPSO_NS1_7vsmem_tEENKUlT_SM_SN_SO_E_clIPS9_SH_SI_SI_EESL_S11_SM_SN_SO_EUlS11_E0_NS1_11comp_targetILNS1_3genE10ELNS1_11target_archE1201ELNS1_3gpuE5ELNS1_3repE0EEENS1_38merge_mergepath_config_static_selectorELNS0_4arch9wavefront6targetE1EEEvSN_
; %bb.0:
	.section	.rodata,"a",@progbits
	.p2align	6, 0x0
	.amdhsa_kernel _ZN7rocprim17ROCPRIM_400000_NS6detail17trampoline_kernelINS0_14default_configENS1_38merge_sort_block_merge_config_selectorIN6thrust23THRUST_200600_302600_NS5tupleIffNS6_9null_typeES8_S8_S8_S8_S8_S8_S8_EENS0_10empty_typeEEEZZNS1_27merge_sort_block_merge_implIS3_NS6_6detail15normal_iteratorINS6_10device_ptrIS9_EEEEPSA_mNS6_4lessIS9_EEEE10hipError_tT0_T1_T2_jT3_P12ihipStream_tbPNSt15iterator_traitsISM_E10value_typeEPNSS_ISN_E10value_typeEPSO_NS1_7vsmem_tEENKUlT_SM_SN_SO_E_clIPS9_SH_SI_SI_EESL_S11_SM_SN_SO_EUlS11_E0_NS1_11comp_targetILNS1_3genE10ELNS1_11target_archE1201ELNS1_3gpuE5ELNS1_3repE0EEENS1_38merge_mergepath_config_static_selectorELNS0_4arch9wavefront6targetE1EEEvSN_
		.amdhsa_group_segment_fixed_size 0
		.amdhsa_private_segment_fixed_size 0
		.amdhsa_kernarg_size 72
		.amdhsa_user_sgpr_count 2
		.amdhsa_user_sgpr_dispatch_ptr 0
		.amdhsa_user_sgpr_queue_ptr 0
		.amdhsa_user_sgpr_kernarg_segment_ptr 1
		.amdhsa_user_sgpr_dispatch_id 0
		.amdhsa_user_sgpr_kernarg_preload_length 0
		.amdhsa_user_sgpr_kernarg_preload_offset 0
		.amdhsa_user_sgpr_private_segment_size 0
		.amdhsa_uses_dynamic_stack 0
		.amdhsa_enable_private_segment 0
		.amdhsa_system_sgpr_workgroup_id_x 1
		.amdhsa_system_sgpr_workgroup_id_y 0
		.amdhsa_system_sgpr_workgroup_id_z 0
		.amdhsa_system_sgpr_workgroup_info 0
		.amdhsa_system_vgpr_workitem_id 0
		.amdhsa_next_free_vgpr 1
		.amdhsa_next_free_sgpr 0
		.amdhsa_accum_offset 4
		.amdhsa_reserve_vcc 0
		.amdhsa_float_round_mode_32 0
		.amdhsa_float_round_mode_16_64 0
		.amdhsa_float_denorm_mode_32 3
		.amdhsa_float_denorm_mode_16_64 3
		.amdhsa_dx10_clamp 1
		.amdhsa_ieee_mode 1
		.amdhsa_fp16_overflow 0
		.amdhsa_tg_split 0
		.amdhsa_exception_fp_ieee_invalid_op 0
		.amdhsa_exception_fp_denorm_src 0
		.amdhsa_exception_fp_ieee_div_zero 0
		.amdhsa_exception_fp_ieee_overflow 0
		.amdhsa_exception_fp_ieee_underflow 0
		.amdhsa_exception_fp_ieee_inexact 0
		.amdhsa_exception_int_div_zero 0
	.end_amdhsa_kernel
	.section	.text._ZN7rocprim17ROCPRIM_400000_NS6detail17trampoline_kernelINS0_14default_configENS1_38merge_sort_block_merge_config_selectorIN6thrust23THRUST_200600_302600_NS5tupleIffNS6_9null_typeES8_S8_S8_S8_S8_S8_S8_EENS0_10empty_typeEEEZZNS1_27merge_sort_block_merge_implIS3_NS6_6detail15normal_iteratorINS6_10device_ptrIS9_EEEEPSA_mNS6_4lessIS9_EEEE10hipError_tT0_T1_T2_jT3_P12ihipStream_tbPNSt15iterator_traitsISM_E10value_typeEPNSS_ISN_E10value_typeEPSO_NS1_7vsmem_tEENKUlT_SM_SN_SO_E_clIPS9_SH_SI_SI_EESL_S11_SM_SN_SO_EUlS11_E0_NS1_11comp_targetILNS1_3genE10ELNS1_11target_archE1201ELNS1_3gpuE5ELNS1_3repE0EEENS1_38merge_mergepath_config_static_selectorELNS0_4arch9wavefront6targetE1EEEvSN_,"axG",@progbits,_ZN7rocprim17ROCPRIM_400000_NS6detail17trampoline_kernelINS0_14default_configENS1_38merge_sort_block_merge_config_selectorIN6thrust23THRUST_200600_302600_NS5tupleIffNS6_9null_typeES8_S8_S8_S8_S8_S8_S8_EENS0_10empty_typeEEEZZNS1_27merge_sort_block_merge_implIS3_NS6_6detail15normal_iteratorINS6_10device_ptrIS9_EEEEPSA_mNS6_4lessIS9_EEEE10hipError_tT0_T1_T2_jT3_P12ihipStream_tbPNSt15iterator_traitsISM_E10value_typeEPNSS_ISN_E10value_typeEPSO_NS1_7vsmem_tEENKUlT_SM_SN_SO_E_clIPS9_SH_SI_SI_EESL_S11_SM_SN_SO_EUlS11_E0_NS1_11comp_targetILNS1_3genE10ELNS1_11target_archE1201ELNS1_3gpuE5ELNS1_3repE0EEENS1_38merge_mergepath_config_static_selectorELNS0_4arch9wavefront6targetE1EEEvSN_,comdat
.Lfunc_end36:
	.size	_ZN7rocprim17ROCPRIM_400000_NS6detail17trampoline_kernelINS0_14default_configENS1_38merge_sort_block_merge_config_selectorIN6thrust23THRUST_200600_302600_NS5tupleIffNS6_9null_typeES8_S8_S8_S8_S8_S8_S8_EENS0_10empty_typeEEEZZNS1_27merge_sort_block_merge_implIS3_NS6_6detail15normal_iteratorINS6_10device_ptrIS9_EEEEPSA_mNS6_4lessIS9_EEEE10hipError_tT0_T1_T2_jT3_P12ihipStream_tbPNSt15iterator_traitsISM_E10value_typeEPNSS_ISN_E10value_typeEPSO_NS1_7vsmem_tEENKUlT_SM_SN_SO_E_clIPS9_SH_SI_SI_EESL_S11_SM_SN_SO_EUlS11_E0_NS1_11comp_targetILNS1_3genE10ELNS1_11target_archE1201ELNS1_3gpuE5ELNS1_3repE0EEENS1_38merge_mergepath_config_static_selectorELNS0_4arch9wavefront6targetE1EEEvSN_, .Lfunc_end36-_ZN7rocprim17ROCPRIM_400000_NS6detail17trampoline_kernelINS0_14default_configENS1_38merge_sort_block_merge_config_selectorIN6thrust23THRUST_200600_302600_NS5tupleIffNS6_9null_typeES8_S8_S8_S8_S8_S8_S8_EENS0_10empty_typeEEEZZNS1_27merge_sort_block_merge_implIS3_NS6_6detail15normal_iteratorINS6_10device_ptrIS9_EEEEPSA_mNS6_4lessIS9_EEEE10hipError_tT0_T1_T2_jT3_P12ihipStream_tbPNSt15iterator_traitsISM_E10value_typeEPNSS_ISN_E10value_typeEPSO_NS1_7vsmem_tEENKUlT_SM_SN_SO_E_clIPS9_SH_SI_SI_EESL_S11_SM_SN_SO_EUlS11_E0_NS1_11comp_targetILNS1_3genE10ELNS1_11target_archE1201ELNS1_3gpuE5ELNS1_3repE0EEENS1_38merge_mergepath_config_static_selectorELNS0_4arch9wavefront6targetE1EEEvSN_
                                        ; -- End function
	.section	.AMDGPU.csdata,"",@progbits
; Kernel info:
; codeLenInByte = 0
; NumSgprs: 6
; NumVgprs: 0
; NumAgprs: 0
; TotalNumVgprs: 0
; ScratchSize: 0
; MemoryBound: 0
; FloatMode: 240
; IeeeMode: 1
; LDSByteSize: 0 bytes/workgroup (compile time only)
; SGPRBlocks: 0
; VGPRBlocks: 0
; NumSGPRsForWavesPerEU: 6
; NumVGPRsForWavesPerEU: 1
; AccumOffset: 4
; Occupancy: 8
; WaveLimiterHint : 0
; COMPUTE_PGM_RSRC2:SCRATCH_EN: 0
; COMPUTE_PGM_RSRC2:USER_SGPR: 2
; COMPUTE_PGM_RSRC2:TRAP_HANDLER: 0
; COMPUTE_PGM_RSRC2:TGID_X_EN: 1
; COMPUTE_PGM_RSRC2:TGID_Y_EN: 0
; COMPUTE_PGM_RSRC2:TGID_Z_EN: 0
; COMPUTE_PGM_RSRC2:TIDIG_COMP_CNT: 0
; COMPUTE_PGM_RSRC3_GFX90A:ACCUM_OFFSET: 0
; COMPUTE_PGM_RSRC3_GFX90A:TG_SPLIT: 0
	.section	.text._ZN7rocprim17ROCPRIM_400000_NS6detail17trampoline_kernelINS0_14default_configENS1_38merge_sort_block_merge_config_selectorIN6thrust23THRUST_200600_302600_NS5tupleIffNS6_9null_typeES8_S8_S8_S8_S8_S8_S8_EENS0_10empty_typeEEEZZNS1_27merge_sort_block_merge_implIS3_NS6_6detail15normal_iteratorINS6_10device_ptrIS9_EEEEPSA_mNS6_4lessIS9_EEEE10hipError_tT0_T1_T2_jT3_P12ihipStream_tbPNSt15iterator_traitsISM_E10value_typeEPNSS_ISN_E10value_typeEPSO_NS1_7vsmem_tEENKUlT_SM_SN_SO_E_clIPS9_SH_SI_SI_EESL_S11_SM_SN_SO_EUlS11_E0_NS1_11comp_targetILNS1_3genE5ELNS1_11target_archE942ELNS1_3gpuE9ELNS1_3repE0EEENS1_38merge_mergepath_config_static_selectorELNS0_4arch9wavefront6targetE1EEEvSN_,"axG",@progbits,_ZN7rocprim17ROCPRIM_400000_NS6detail17trampoline_kernelINS0_14default_configENS1_38merge_sort_block_merge_config_selectorIN6thrust23THRUST_200600_302600_NS5tupleIffNS6_9null_typeES8_S8_S8_S8_S8_S8_S8_EENS0_10empty_typeEEEZZNS1_27merge_sort_block_merge_implIS3_NS6_6detail15normal_iteratorINS6_10device_ptrIS9_EEEEPSA_mNS6_4lessIS9_EEEE10hipError_tT0_T1_T2_jT3_P12ihipStream_tbPNSt15iterator_traitsISM_E10value_typeEPNSS_ISN_E10value_typeEPSO_NS1_7vsmem_tEENKUlT_SM_SN_SO_E_clIPS9_SH_SI_SI_EESL_S11_SM_SN_SO_EUlS11_E0_NS1_11comp_targetILNS1_3genE5ELNS1_11target_archE942ELNS1_3gpuE9ELNS1_3repE0EEENS1_38merge_mergepath_config_static_selectorELNS0_4arch9wavefront6targetE1EEEvSN_,comdat
	.protected	_ZN7rocprim17ROCPRIM_400000_NS6detail17trampoline_kernelINS0_14default_configENS1_38merge_sort_block_merge_config_selectorIN6thrust23THRUST_200600_302600_NS5tupleIffNS6_9null_typeES8_S8_S8_S8_S8_S8_S8_EENS0_10empty_typeEEEZZNS1_27merge_sort_block_merge_implIS3_NS6_6detail15normal_iteratorINS6_10device_ptrIS9_EEEEPSA_mNS6_4lessIS9_EEEE10hipError_tT0_T1_T2_jT3_P12ihipStream_tbPNSt15iterator_traitsISM_E10value_typeEPNSS_ISN_E10value_typeEPSO_NS1_7vsmem_tEENKUlT_SM_SN_SO_E_clIPS9_SH_SI_SI_EESL_S11_SM_SN_SO_EUlS11_E0_NS1_11comp_targetILNS1_3genE5ELNS1_11target_archE942ELNS1_3gpuE9ELNS1_3repE0EEENS1_38merge_mergepath_config_static_selectorELNS0_4arch9wavefront6targetE1EEEvSN_ ; -- Begin function _ZN7rocprim17ROCPRIM_400000_NS6detail17trampoline_kernelINS0_14default_configENS1_38merge_sort_block_merge_config_selectorIN6thrust23THRUST_200600_302600_NS5tupleIffNS6_9null_typeES8_S8_S8_S8_S8_S8_S8_EENS0_10empty_typeEEEZZNS1_27merge_sort_block_merge_implIS3_NS6_6detail15normal_iteratorINS6_10device_ptrIS9_EEEEPSA_mNS6_4lessIS9_EEEE10hipError_tT0_T1_T2_jT3_P12ihipStream_tbPNSt15iterator_traitsISM_E10value_typeEPNSS_ISN_E10value_typeEPSO_NS1_7vsmem_tEENKUlT_SM_SN_SO_E_clIPS9_SH_SI_SI_EESL_S11_SM_SN_SO_EUlS11_E0_NS1_11comp_targetILNS1_3genE5ELNS1_11target_archE942ELNS1_3gpuE9ELNS1_3repE0EEENS1_38merge_mergepath_config_static_selectorELNS0_4arch9wavefront6targetE1EEEvSN_
	.globl	_ZN7rocprim17ROCPRIM_400000_NS6detail17trampoline_kernelINS0_14default_configENS1_38merge_sort_block_merge_config_selectorIN6thrust23THRUST_200600_302600_NS5tupleIffNS6_9null_typeES8_S8_S8_S8_S8_S8_S8_EENS0_10empty_typeEEEZZNS1_27merge_sort_block_merge_implIS3_NS6_6detail15normal_iteratorINS6_10device_ptrIS9_EEEEPSA_mNS6_4lessIS9_EEEE10hipError_tT0_T1_T2_jT3_P12ihipStream_tbPNSt15iterator_traitsISM_E10value_typeEPNSS_ISN_E10value_typeEPSO_NS1_7vsmem_tEENKUlT_SM_SN_SO_E_clIPS9_SH_SI_SI_EESL_S11_SM_SN_SO_EUlS11_E0_NS1_11comp_targetILNS1_3genE5ELNS1_11target_archE942ELNS1_3gpuE9ELNS1_3repE0EEENS1_38merge_mergepath_config_static_selectorELNS0_4arch9wavefront6targetE1EEEvSN_
	.p2align	8
	.type	_ZN7rocprim17ROCPRIM_400000_NS6detail17trampoline_kernelINS0_14default_configENS1_38merge_sort_block_merge_config_selectorIN6thrust23THRUST_200600_302600_NS5tupleIffNS6_9null_typeES8_S8_S8_S8_S8_S8_S8_EENS0_10empty_typeEEEZZNS1_27merge_sort_block_merge_implIS3_NS6_6detail15normal_iteratorINS6_10device_ptrIS9_EEEEPSA_mNS6_4lessIS9_EEEE10hipError_tT0_T1_T2_jT3_P12ihipStream_tbPNSt15iterator_traitsISM_E10value_typeEPNSS_ISN_E10value_typeEPSO_NS1_7vsmem_tEENKUlT_SM_SN_SO_E_clIPS9_SH_SI_SI_EESL_S11_SM_SN_SO_EUlS11_E0_NS1_11comp_targetILNS1_3genE5ELNS1_11target_archE942ELNS1_3gpuE9ELNS1_3repE0EEENS1_38merge_mergepath_config_static_selectorELNS0_4arch9wavefront6targetE1EEEvSN_,@function
_ZN7rocprim17ROCPRIM_400000_NS6detail17trampoline_kernelINS0_14default_configENS1_38merge_sort_block_merge_config_selectorIN6thrust23THRUST_200600_302600_NS5tupleIffNS6_9null_typeES8_S8_S8_S8_S8_S8_S8_EENS0_10empty_typeEEEZZNS1_27merge_sort_block_merge_implIS3_NS6_6detail15normal_iteratorINS6_10device_ptrIS9_EEEEPSA_mNS6_4lessIS9_EEEE10hipError_tT0_T1_T2_jT3_P12ihipStream_tbPNSt15iterator_traitsISM_E10value_typeEPNSS_ISN_E10value_typeEPSO_NS1_7vsmem_tEENKUlT_SM_SN_SO_E_clIPS9_SH_SI_SI_EESL_S11_SM_SN_SO_EUlS11_E0_NS1_11comp_targetILNS1_3genE5ELNS1_11target_archE942ELNS1_3gpuE9ELNS1_3repE0EEENS1_38merge_mergepath_config_static_selectorELNS0_4arch9wavefront6targetE1EEEvSN_: ; @_ZN7rocprim17ROCPRIM_400000_NS6detail17trampoline_kernelINS0_14default_configENS1_38merge_sort_block_merge_config_selectorIN6thrust23THRUST_200600_302600_NS5tupleIffNS6_9null_typeES8_S8_S8_S8_S8_S8_S8_EENS0_10empty_typeEEEZZNS1_27merge_sort_block_merge_implIS3_NS6_6detail15normal_iteratorINS6_10device_ptrIS9_EEEEPSA_mNS6_4lessIS9_EEEE10hipError_tT0_T1_T2_jT3_P12ihipStream_tbPNSt15iterator_traitsISM_E10value_typeEPNSS_ISN_E10value_typeEPSO_NS1_7vsmem_tEENKUlT_SM_SN_SO_E_clIPS9_SH_SI_SI_EESL_S11_SM_SN_SO_EUlS11_E0_NS1_11comp_targetILNS1_3genE5ELNS1_11target_archE942ELNS1_3gpuE9ELNS1_3repE0EEENS1_38merge_mergepath_config_static_selectorELNS0_4arch9wavefront6targetE1EEEvSN_
; %bb.0:
	s_load_dwordx2 s[22:23], s[0:1], 0x48
	s_load_dword s5, s[0:1], 0x38
	s_add_u32 s20, s0, 0x48
	s_addc_u32 s21, s1, 0
	s_waitcnt lgkmcnt(0)
	s_mul_i32 s4, s23, s4
	s_add_i32 s3, s4, s3
	s_mul_i32 s3, s3, s22
	s_add_i32 s18, s3, s2
	s_cmp_ge_u32 s18, s5
	s_cbranch_scc1 .LBB37_98
; %bb.1:
	s_load_dwordx2 s[12:13], s[0:1], 0x40
	s_load_dwordx4 s[8:11], s[0:1], 0x8
	s_load_dwordx4 s[4:7], s[0:1], 0x28
	s_mov_b32 s19, 0
	s_lshl_b64 s[0:1], s[18:19], 3
	s_waitcnt lgkmcnt(0)
	s_add_u32 s0, s12, s0
	s_addc_u32 s1, s13, s1
	v_mov_b32_e32 v1, s6
	v_alignbit_b32 v1, s7, v1, 9
	v_and_b32_e32 v1, -2, v1
	v_sub_u32_e32 v1, 0, v1
	s_load_dwordx4 s[12:15], s[0:1], 0x0
	v_and_b32_e32 v2, s18, v1
	v_mov_b32_e32 v3, 0
	v_lshlrev_b64 v[4:5], 10, v[2:3]
	s_lshl_b64 s[16:17], s[18:19], 10
	v_mov_b32_e32 v7, s17
	v_sub_co_u32_e32 v6, vcc, s16, v4
	v_lshlrev_b64 v[2:3], 11, v[2:3]
	s_nop 0
	v_subb_co_u32_e32 v7, vcc, v7, v5, vcc
	v_lshl_add_u64 v[8:9], v[2:3], 0, s[6:7]
	v_lshl_add_u64 v[2:3], v[8:9], 0, v[6:7]
	s_waitcnt lgkmcnt(0)
	v_mov_b32_e32 v7, s15
	v_subrev_co_u32_e32 v6, vcc, s14, v2
	s_mov_b64 s[0:1], 0x400
	s_nop 0
	v_subb_co_u32_e32 v7, vcc, v3, v7, vcc
	v_or_b32_e32 v1, s18, v1
	v_lshl_add_u64 v[10:11], v[6:7], 0, s[0:1]
	v_cmp_ne_u32_e32 vcc, -1, v1
	v_cmp_lt_u64_e64 s[0:1], s[4:5], v[10:11]
	s_cbranch_vccz .LBB37_3
; %bb.2:
	v_mov_b32_e32 v1, s4
	v_mov_b64_e32 v[6:7], s[14:15]
	v_cndmask_b32_e64 v4, v10, v1, s[0:1]
	s_branch .LBB37_4
.LBB37_3:
	v_sub_co_u32_e32 v4, vcc, v8, v4
	v_mov_b32_e32 v1, s4
	s_nop 0
	v_subb_co_u32_e32 v5, vcc, v9, v5, vcc
	v_cmp_lt_u64_e32 vcc, s[4:5], v[4:5]
	s_nop 1
	v_cndmask_b32_e32 v6, v4, v1, vcc
	v_lshl_add_u64 v[4:5], v[4:5], 0, s[6:7]
	v_cmp_lt_u64_e32 vcc, s[4:5], v[4:5]
	s_nop 1
	v_cndmask_b32_e32 v4, v4, v1, vcc
.LBB37_4:
	s_lshr_b64 s[14:15], s[4:5], 10
	s_cmp_lg_u64 s[14:15], s[18:19]
	s_cselect_b64 s[6:7], -1, 0
	s_lshl_b64 s[0:1], s[12:13], 3
	s_add_u32 s0, s8, s0
	s_addc_u32 s1, s9, s1
	s_cmp_lt_u32 s2, s22
	v_mov_b32_e32 v19, 0
	s_cselect_b32 s2, 12, 18
	global_load_dword v5, v19, s[20:21] offset:14
	s_add_u32 s2, s20, s2
	s_addc_u32 s3, s21, 0
	global_load_ushort v7, v19, s[2:3]
	v_mov_b32_e32 v8, s13
	v_subrev_co_u32_e32 v2, vcc, s12, v2
	v_mov_b32_e32 v9, s5
	s_nop 0
	v_subb_co_u32_e32 v3, vcc, v3, v8, vcc
	v_mov_b32_e32 v10, s4
	v_cmp_lt_u64_e32 vcc, s[4:5], v[2:3]
	v_subrev_u32_e32 v1, s12, v6
	v_lshlrev_b32_e32 v18, 3, v0
	v_cndmask_b32_e32 v3, v3, v9, vcc
	v_cndmask_b32_e32 v2, v2, v10, vcc
	v_sub_u32_e32 v34, v4, v2
	v_lshlrev_b64 v[2:3], 3, v[2:3]
	v_lshl_add_u64 v[24:25], s[8:9], 0, v[2:3]
	s_cmp_eq_u64 s[14:15], s[18:19]
	v_add_u32_e32 v35, v1, v34
	s_waitcnt vmcnt(1)
	v_lshrrev_b32_e32 v2, 16, v5
	v_and_b32_e32 v3, 0xffff, v5
	v_mul_lo_u32 v2, v3, v2
	s_waitcnt vmcnt(0)
	v_mul_lo_u32 v36, v2, v7
	v_add_u32_e32 v32, v36, v0
	v_add_u32_e32 v30, v32, v36
	s_cbranch_scc1 .LBB37_6
; %bb.5:
	v_sub_u32_e32 v4, v0, v1
	v_mov_b32_e32 v5, v19
	v_lshl_add_u64 v[2:3], s[0:1], 0, v[18:19]
	v_lshl_add_u64 v[4:5], v[4:5], 3, v[24:25]
	v_cmp_lt_u32_e32 vcc, v0, v1
	v_mov_b32_e32 v33, v19
	v_sub_u32_e32 v6, v32, v1
	v_mov_b32_e32 v7, v19
	v_cndmask_b32_e32 v3, v5, v3, vcc
	v_cndmask_b32_e32 v2, v4, v2, vcc
	v_lshl_add_u64 v[4:5], v[32:33], 3, s[0:1]
	v_lshl_add_u64 v[6:7], v[6:7], 3, v[24:25]
	v_cmp_lt_u32_e32 vcc, v32, v1
	v_mov_b32_e32 v31, v19
	v_mov_b32_e32 v11, v19
	v_cndmask_b32_e32 v5, v7, v5, vcc
	v_cndmask_b32_e32 v4, v6, v4, vcc
	v_sub_u32_e32 v6, v30, v1
	v_mov_b32_e32 v7, v19
	global_load_dwordx2 v[20:21], v[4:5], off
	v_lshl_add_u64 v[4:5], v[30:31], 3, s[0:1]
	v_lshl_add_u64 v[6:7], v[6:7], 3, v[24:25]
	v_cmp_lt_u32_e32 vcc, v30, v1
	v_mov_b32_e32 v13, v19
	global_load_dwordx2 v[2:3], v[2:3], off
	v_cndmask_b32_e32 v5, v7, v5, vcc
	v_cndmask_b32_e32 v4, v6, v4, vcc
	global_load_dwordx2 v[6:7], v[4:5], off
	v_add_u32_e32 v4, v30, v36
	v_mov_b32_e32 v5, v19
	v_sub_u32_e32 v10, v4, v1
	v_lshl_add_u64 v[8:9], v[4:5], 3, s[0:1]
	v_lshl_add_u64 v[10:11], v[10:11], 3, v[24:25]
	v_cmp_lt_u32_e32 vcc, v4, v1
	v_add_u32_e32 v4, v4, v36
	s_nop 0
	v_cndmask_b32_e32 v9, v11, v9, vcc
	v_cndmask_b32_e32 v8, v10, v8, vcc
	v_sub_u32_e32 v10, v4, v1
	v_mov_b32_e32 v11, v19
	global_load_dwordx2 v[22:23], v[8:9], off
	v_lshl_add_u64 v[8:9], v[4:5], 3, s[0:1]
	v_lshl_add_u64 v[10:11], v[10:11], 3, v[24:25]
	v_cmp_lt_u32_e32 vcc, v4, v1
	v_add_u32_e32 v4, v4, v36
	v_sub_u32_e32 v12, v4, v1
	v_cndmask_b32_e32 v9, v11, v9, vcc
	v_cndmask_b32_e32 v8, v10, v8, vcc
	global_load_dwordx2 v[10:11], v[8:9], off
	v_lshl_add_u64 v[8:9], v[4:5], 3, s[0:1]
	v_lshl_add_u64 v[12:13], v[12:13], 3, v[24:25]
	v_cmp_lt_u32_e32 vcc, v4, v1
	v_add_u32_e32 v4, v4, v36
	s_nop 0
	v_cndmask_b32_e32 v9, v13, v9, vcc
	v_cndmask_b32_e32 v8, v12, v8, vcc
	v_sub_u32_e32 v12, v4, v1
	v_mov_b32_e32 v13, v19
	global_load_dwordx2 v[26:27], v[8:9], off
	v_lshl_add_u64 v[8:9], v[4:5], 3, s[0:1]
	v_lshl_add_u64 v[12:13], v[12:13], 3, v[24:25]
	v_cmp_lt_u32_e32 vcc, v4, v1
	v_add_u32_e32 v4, v4, v36
	s_nop 0
	v_cndmask_b32_e32 v9, v13, v9, vcc
	v_cndmask_b32_e32 v8, v12, v8, vcc
	v_sub_u32_e32 v12, v4, v1
	v_mov_b32_e32 v13, v19
	global_load_dwordx2 v[14:15], v[8:9], off
	v_lshl_add_u64 v[8:9], v[4:5], 3, s[0:1]
	v_lshl_add_u64 v[12:13], v[12:13], 3, v[24:25]
	v_cmp_lt_u32_e32 vcc, v4, v1
	v_add_u32_e32 v19, v1, v34
	s_nop 0
	v_cndmask_b32_e32 v5, v13, v9, vcc
	v_cndmask_b32_e32 v4, v12, v8, vcc
	global_load_dwordx2 v[28:29], v[4:5], off
	s_cbranch_execz .LBB37_7
	s_branch .LBB37_24
.LBB37_6:
                                        ; implicit-def: $vgpr28_vgpr29
                                        ; implicit-def: $vgpr26_vgpr27
                                        ; implicit-def: $vgpr22_vgpr23
                                        ; implicit-def: $vgpr20_vgpr21
                                        ; implicit-def: $vgpr19
                                        ; implicit-def: $vgpr14_vgpr15_vgpr16_vgpr17
                                        ; implicit-def: $vgpr10_vgpr11_vgpr12_vgpr13
                                        ; implicit-def: $vgpr6_vgpr7_vgpr8_vgpr9
                                        ; implicit-def: $vgpr2_vgpr3_vgpr4_vgpr5
.LBB37_7:
	s_mov_b32 s2, 0
	s_mov_b32 s3, s2
	v_cmp_lt_u32_e32 vcc, v0, v35
	s_waitcnt vmcnt(6)
	v_mov_b64_e32 v[2:3], s[2:3]
	s_and_saveexec_b64 s[8:9], vcc
	s_cbranch_execz .LBB37_9
; %bb.8:
	v_mov_b32_e32 v19, 0
	v_sub_u32_e32 v4, v0, v1
	v_mov_b32_e32 v5, v19
	v_lshl_add_u64 v[2:3], s[0:1], 0, v[18:19]
	v_lshl_add_u64 v[4:5], v[4:5], 3, v[24:25]
	v_cmp_lt_u32_e32 vcc, v0, v1
	s_nop 1
	v_cndmask_b32_e32 v3, v5, v3, vcc
	v_cndmask_b32_e32 v2, v4, v2, vcc
	global_load_dwordx2 v[2:3], v[2:3], off
.LBB37_9:
	s_or_b64 exec, exec, s[8:9]
	v_cmp_lt_u32_e32 vcc, v32, v35
	v_mov_b64_e32 v[20:21], s[2:3]
	s_and_saveexec_b64 s[2:3], vcc
	s_cbranch_execz .LBB37_11
; %bb.10:
	v_mov_b32_e32 v33, 0
	v_lshl_add_u64 v[4:5], v[32:33], 3, s[0:1]
	v_cmp_lt_u32_e32 vcc, v32, v1
	v_sub_u32_e32 v32, v32, v1
	s_waitcnt vmcnt(5)
	v_lshl_add_u64 v[6:7], v[32:33], 3, v[24:25]
	v_cndmask_b32_e32 v5, v7, v5, vcc
	v_cndmask_b32_e32 v4, v6, v4, vcc
	global_load_dwordx2 v[20:21], v[4:5], off
.LBB37_11:
	s_or_b64 exec, exec, s[2:3]
	s_mov_b32 s2, 0
	s_mov_b32 s3, s2
	v_cmp_lt_u32_e32 vcc, v30, v35
	s_waitcnt vmcnt(5)
	v_mov_b64_e32 v[6:7], s[2:3]
	s_and_saveexec_b64 s[8:9], vcc
	s_cbranch_execz .LBB37_13
; %bb.12:
	v_mov_b32_e32 v31, 0
	v_sub_u32_e32 v6, v30, v1
	v_mov_b32_e32 v7, v31
	v_lshl_add_u64 v[4:5], v[30:31], 3, s[0:1]
	v_lshl_add_u64 v[6:7], v[6:7], 3, v[24:25]
	v_cmp_lt_u32_e32 vcc, v30, v1
	s_nop 1
	v_cndmask_b32_e32 v5, v7, v5, vcc
	v_cndmask_b32_e32 v4, v6, v4, vcc
	global_load_dwordx2 v[6:7], v[4:5], off
.LBB37_13:
	s_or_b64 exec, exec, s[8:9]
	v_add_u32_e32 v4, v30, v36
	v_cmp_lt_u32_e32 vcc, v4, v35
	s_waitcnt vmcnt(4)
	v_mov_b64_e32 v[22:23], s[2:3]
	s_and_saveexec_b64 s[2:3], vcc
	s_cbranch_execz .LBB37_15
; %bb.14:
	v_mov_b32_e32 v5, 0
	s_waitcnt vmcnt(3)
	v_sub_u32_e32 v10, v4, v1
	v_mov_b32_e32 v11, v5
	v_lshl_add_u64 v[8:9], v[4:5], 3, s[0:1]
	v_lshl_add_u64 v[10:11], v[10:11], 3, v[24:25]
	v_cmp_lt_u32_e32 vcc, v4, v1
	s_nop 1
	v_cndmask_b32_e32 v9, v11, v9, vcc
	v_cndmask_b32_e32 v8, v10, v8, vcc
	global_load_dwordx2 v[22:23], v[8:9], off
.LBB37_15:
	s_or_b64 exec, exec, s[2:3]
	s_mov_b32 s2, 0
	v_add_u32_e32 v4, v4, v36
	s_mov_b32 s3, s2
	v_cmp_lt_u32_e32 vcc, v4, v35
	s_waitcnt vmcnt(3)
	v_mov_b64_e32 v[10:11], s[2:3]
	s_and_saveexec_b64 s[8:9], vcc
	s_cbranch_execz .LBB37_17
; %bb.16:
	v_mov_b32_e32 v5, 0
	v_sub_u32_e32 v10, v4, v1
	v_mov_b32_e32 v11, v5
	v_lshl_add_u64 v[8:9], v[4:5], 3, s[0:1]
	v_lshl_add_u64 v[10:11], v[10:11], 3, v[24:25]
	v_cmp_lt_u32_e32 vcc, v4, v1
	s_nop 1
	v_cndmask_b32_e32 v9, v11, v9, vcc
	v_cndmask_b32_e32 v8, v10, v8, vcc
	global_load_dwordx2 v[10:11], v[8:9], off
.LBB37_17:
	s_or_b64 exec, exec, s[8:9]
	v_add_u32_e32 v4, v4, v36
	v_cmp_lt_u32_e32 vcc, v4, v35
	s_waitcnt vmcnt(2)
	v_mov_b64_e32 v[26:27], s[2:3]
	s_and_saveexec_b64 s[2:3], vcc
	s_cbranch_execz .LBB37_19
; %bb.18:
	v_mov_b32_e32 v5, 0
	v_sub_u32_e32 v12, v4, v1
	v_mov_b32_e32 v13, v5
	v_lshl_add_u64 v[8:9], v[4:5], 3, s[0:1]
	v_lshl_add_u64 v[12:13], v[12:13], 3, v[24:25]
	v_cmp_lt_u32_e32 vcc, v4, v1
	s_nop 1
	v_cndmask_b32_e32 v9, v13, v9, vcc
	v_cndmask_b32_e32 v8, v12, v8, vcc
	global_load_dwordx2 v[26:27], v[8:9], off
.LBB37_19:
	s_or_b64 exec, exec, s[2:3]
	s_mov_b32 s2, 0
	v_add_u32_e32 v4, v4, v36
	s_mov_b32 s3, s2
	v_cmp_lt_u32_e32 vcc, v4, v35
	s_waitcnt vmcnt(1)
	v_mov_b64_e32 v[14:15], s[2:3]
	s_and_saveexec_b64 s[8:9], vcc
	s_cbranch_execz .LBB37_21
; %bb.20:
	v_mov_b32_e32 v5, 0
	v_sub_u32_e32 v12, v4, v1
	v_mov_b32_e32 v13, v5
	v_lshl_add_u64 v[8:9], v[4:5], 3, s[0:1]
	v_lshl_add_u64 v[12:13], v[12:13], 3, v[24:25]
	v_cmp_lt_u32_e32 vcc, v4, v1
	s_nop 1
	v_cndmask_b32_e32 v9, v13, v9, vcc
	v_cndmask_b32_e32 v8, v12, v8, vcc
	global_load_dwordx2 v[14:15], v[8:9], off
.LBB37_21:
	s_or_b64 exec, exec, s[8:9]
	v_add_u32_e32 v4, v4, v36
	v_cmp_lt_u32_e32 vcc, v4, v35
	s_waitcnt vmcnt(0)
	v_mov_b64_e32 v[28:29], s[2:3]
	s_and_saveexec_b64 s[2:3], vcc
	s_cbranch_execz .LBB37_23
; %bb.22:
	v_mov_b32_e32 v5, 0
	v_lshl_add_u64 v[8:9], v[4:5], 3, s[0:1]
	v_cmp_lt_u32_e32 vcc, v4, v1
	v_sub_u32_e32 v4, v4, v1
	v_lshl_add_u64 v[4:5], v[4:5], 3, v[24:25]
	v_cndmask_b32_e32 v5, v5, v9, vcc
	v_cndmask_b32_e32 v4, v4, v8, vcc
	global_load_dwordx2 v[28:29], v[4:5], off
.LBB37_23:
	s_or_b64 exec, exec, s[2:3]
	v_mov_b32_e32 v19, v35
.LBB37_24:
	v_min_u32_e32 v4, v19, v18
	v_sub_u32_e64 v16, v4, v34 clamp
	v_min_u32_e32 v5, v4, v1
	v_cmp_lt_u32_e32 vcc, v16, v5
	s_waitcnt vmcnt(6)
	ds_write2st64_b64 v18, v[2:3], v[20:21] offset1:2
	s_waitcnt vmcnt(4)
	ds_write2st64_b64 v18, v[6:7], v[22:23] offset0:4 offset1:6
	s_waitcnt vmcnt(2)
	ds_write2st64_b64 v18, v[10:11], v[26:27] offset0:8 offset1:10
	;; [unrolled: 2-line block ×3, first 2 shown]
	s_waitcnt lgkmcnt(0)
	s_barrier
	s_and_saveexec_b64 s[0:1], vcc
	s_cbranch_execz .LBB37_32
; %bb.25:
	v_lshlrev_b32_e32 v8, 3, v4
	v_lshl_add_u32 v8, v1, 3, v8
	s_mov_b64 s[2:3], 0
                                        ; implicit-def: $sgpr8_sgpr9
	s_branch .LBB37_28
.LBB37_26:                              ;   in Loop: Header=BB37_28 Depth=1
	s_or_b64 exec, exec, s[18:19]
	s_andn2_b64 s[8:9], s[8:9], exec
	s_and_b64 s[14:15], s[14:15], exec
	s_or_b64 s[8:9], s[8:9], s[14:15]
.LBB37_27:                              ;   in Loop: Header=BB37_28 Depth=1
	s_or_b64 exec, exec, s[12:13]
	v_add_u32_e32 v12, 1, v9
	v_cndmask_b32_e64 v5, v5, v9, s[8:9]
	v_cndmask_b32_e64 v16, v12, v16, s[8:9]
	v_cmp_ge_u32_e32 vcc, v16, v5
	s_or_b64 s[2:3], vcc, s[2:3]
	s_andn2_b64 exec, exec, s[2:3]
	s_cbranch_execz .LBB37_31
.LBB37_28:                              ; =>This Inner Loop Header: Depth=1
	v_add_u32_e32 v9, v5, v16
	v_lshrrev_b32_e32 v9, 1, v9
	v_not_b32_e32 v13, v9
	v_lshlrev_b32_e32 v12, 3, v9
	v_lshl_add_u32 v13, v13, 3, v8
	ds_read_b32 v17, v12
	ds_read_b32 v24, v13
	s_or_b64 s[8:9], s[8:9], exec
	s_waitcnt lgkmcnt(0)
	v_cmp_nlt_f32_e32 vcc, v24, v17
	s_and_saveexec_b64 s[12:13], vcc
	s_cbranch_execz .LBB37_27
; %bb.29:                               ;   in Loop: Header=BB37_28 Depth=1
	v_cmp_nlt_f32_e32 vcc, v17, v24
	s_mov_b64 s[14:15], 0
	s_and_saveexec_b64 s[18:19], vcc
	s_cbranch_execz .LBB37_26
; %bb.30:                               ;   in Loop: Header=BB37_28 Depth=1
	ds_read_b32 v13, v13 offset:4
	ds_read_b32 v12, v12 offset:4
	s_waitcnt lgkmcnt(0)
	v_cmp_lt_f32_e32 vcc, v13, v12
	s_and_b64 s[14:15], vcc, exec
	s_branch .LBB37_26
.LBB37_31:
	s_or_b64 exec, exec, s[2:3]
.LBB37_32:
	s_or_b64 exec, exec, s[0:1]
	v_sub_u32_e32 v4, v4, v16
	v_add_u32_e32 v17, v4, v1
	v_cmp_le_u32_e32 vcc, v16, v1
	v_cmp_le_u32_e64 s[0:1], v17, v19
	s_or_b64 s[0:1], vcc, s[0:1]
	s_and_saveexec_b64 s[2:3], s[0:1]
	s_cbranch_execz .LBB37_86
; %bb.33:
	v_cmp_ge_u32_e32 vcc, v16, v1
	v_cmp_lt_u32_e64 s[0:1], v16, v1
	v_mov_b32_e32 v2, 0
	v_mov_b32_e32 v4, 0
	;; [unrolled: 1-line block ×3, first 2 shown]
	s_and_saveexec_b64 s[8:9], s[0:1]
	s_cbranch_execz .LBB37_35
; %bb.34:
	v_lshlrev_b32_e32 v3, 3, v16
	ds_read_b64 v[4:5], v3
.LBB37_35:
	s_or_b64 exec, exec, s[8:9]
	v_cmp_ge_u32_e64 s[8:9], v17, v19
	v_cmp_lt_u32_e64 s[0:1], v17, v19
	v_mov_b32_e32 v3, 0
	s_and_saveexec_b64 s[12:13], s[0:1]
	s_cbranch_execz .LBB37_37
; %bb.36:
	v_lshlrev_b32_e32 v2, 3, v17
	ds_read_b64 v[2:3], v2
.LBB37_37:
	s_or_b64 exec, exec, s[12:13]
	s_or_b64 s[0:1], vcc, s[8:9]
	s_mov_b64 s[12:13], -1
	s_xor_b64 s[14:15], s[0:1], -1
	s_and_saveexec_b64 s[0:1], s[14:15]
	s_cbranch_execz .LBB37_43
; %bb.38:
	s_waitcnt lgkmcnt(0)
	v_cmp_nlt_f32_e32 vcc, v2, v4
	s_mov_b64 s[18:19], 0
	s_and_saveexec_b64 s[14:15], vcc
	s_cbranch_execz .LBB37_42
; %bb.39:
	v_cmp_nlt_f32_e32 vcc, v4, v2
	s_mov_b64 s[18:19], -1
	s_and_saveexec_b64 s[20:21], vcc
; %bb.40:
	v_cmp_nlt_f32_e32 vcc, v3, v5
	s_orn2_b64 s[18:19], vcc, exec
; %bb.41:
	s_or_b64 exec, exec, s[20:21]
	s_and_b64 s[18:19], s[18:19], exec
.LBB37_42:
	s_or_b64 exec, exec, s[14:15]
	s_andn2_b64 s[8:9], s[8:9], exec
	s_and_b64 s[14:15], s[18:19], exec
	s_or_b64 s[8:9], s[8:9], s[14:15]
.LBB37_43:
	s_or_b64 exec, exec, s[0:1]
	v_cndmask_b32_e64 v6, v17, v16, s[8:9]
	v_cndmask_b32_e64 v7, v19, v1, s[8:9]
	v_add_u32_e32 v11, 1, v6
	v_add_u32_e32 v6, -1, v7
	v_min_u32_e32 v6, v11, v6
	v_lshlrev_b32_e32 v6, 3, v6
	ds_read_b64 v[6:7], v6
	v_cndmask_b32_e64 v10, v11, v17, s[8:9]
	v_cndmask_b32_e64 v11, v16, v11, s[8:9]
	v_cmp_lt_u32_e32 vcc, v10, v19
	s_waitcnt lgkmcnt(0)
	v_cndmask_b32_e64 v8, v6, v2, s[8:9]
	v_cndmask_b32_e64 v9, v7, v3, s[8:9]
	;; [unrolled: 1-line block ×4, first 2 shown]
	s_and_saveexec_b64 s[14:15], vcc
	s_cbranch_execz .LBB37_49
; %bb.44:
	v_cmp_lt_u32_e32 vcc, v11, v1
	v_cmp_nlt_f32_e64 s[0:1], v8, v12
	s_and_b64 s[18:19], vcc, s[0:1]
	s_mov_b64 s[12:13], 0
	s_and_saveexec_b64 s[0:1], s[18:19]
	s_cbranch_execz .LBB37_48
; %bb.45:
	v_cmp_nlt_f32_e32 vcc, v12, v8
	s_mov_b64 s[12:13], -1
	s_and_saveexec_b64 s[18:19], vcc
; %bb.46:
	v_cmp_nlt_f32_e32 vcc, v9, v13
	s_orn2_b64 s[12:13], vcc, exec
; %bb.47:
	s_or_b64 exec, exec, s[18:19]
	s_and_b64 s[12:13], s[12:13], exec
.LBB37_48:
	s_or_b64 exec, exec, s[0:1]
	s_orn2_b64 s[12:13], s[12:13], exec
.LBB37_49:
	s_or_b64 exec, exec, s[14:15]
	v_cndmask_b32_e64 v6, v10, v11, s[12:13]
	v_cndmask_b32_e64 v7, v19, v1, s[12:13]
	v_add_u32_e32 v20, 1, v6
	v_add_u32_e32 v6, -1, v7
	v_min_u32_e32 v6, v20, v6
	v_lshlrev_b32_e32 v6, 3, v6
	ds_read_b64 v[14:15], v6
	v_cndmask_b32_e64 v10, v20, v10, s[12:13]
	v_cndmask_b32_e64 v11, v11, v20, s[12:13]
	v_cmp_lt_u32_e32 vcc, v10, v19
	s_mov_b64 s[18:19], -1
	s_waitcnt lgkmcnt(0)
	v_cndmask_b32_e64 v6, v14, v8, s[12:13]
	v_cndmask_b32_e64 v7, v15, v9, s[12:13]
	;; [unrolled: 1-line block ×4, first 2 shown]
	s_mov_b64 s[14:15], -1
	s_and_saveexec_b64 s[20:21], vcc
	s_cbranch_execz .LBB37_55
; %bb.50:
	v_cmp_lt_u32_e32 vcc, v11, v1
	v_cmp_nlt_f32_e64 s[0:1], v6, v16
	s_and_b64 s[22:23], vcc, s[0:1]
	s_mov_b64 s[14:15], 0
	s_and_saveexec_b64 s[0:1], s[22:23]
	s_cbranch_execz .LBB37_54
; %bb.51:
	v_cmp_nlt_f32_e32 vcc, v16, v6
	s_mov_b64 s[14:15], -1
	s_and_saveexec_b64 s[22:23], vcc
; %bb.52:
	v_cmp_nlt_f32_e32 vcc, v7, v17
	s_orn2_b64 s[14:15], vcc, exec
; %bb.53:
	s_or_b64 exec, exec, s[22:23]
	s_and_b64 s[14:15], s[14:15], exec
.LBB37_54:
	s_or_b64 exec, exec, s[0:1]
	s_orn2_b64 s[14:15], s[14:15], exec
.LBB37_55:
	s_or_b64 exec, exec, s[20:21]
	v_cndmask_b32_e64 v14, v10, v11, s[14:15]
	v_cndmask_b32_e64 v15, v19, v1, s[14:15]
	v_add_u32_e32 v24, 1, v14
	v_add_u32_e32 v14, -1, v15
	v_min_u32_e32 v14, v24, v14
	v_lshlrev_b32_e32 v14, 3, v14
	ds_read_b64 v[14:15], v14
	s_waitcnt lgkmcnt(0)
	v_cndmask_b32_e64 v20, v14, v6, s[14:15]
	v_cndmask_b32_e64 v22, v16, v14, s[14:15]
	;; [unrolled: 1-line block ×6, first 2 shown]
	v_cmp_lt_u32_e32 vcc, v14, v19
	s_and_saveexec_b64 s[20:21], vcc
	s_cbranch_execz .LBB37_61
; %bb.56:
	v_cmp_lt_u32_e32 vcc, v15, v1
	v_cmp_nlt_f32_e64 s[0:1], v20, v22
	s_and_b64 s[22:23], vcc, s[0:1]
	s_mov_b64 s[18:19], 0
	s_and_saveexec_b64 s[0:1], s[22:23]
	s_cbranch_execz .LBB37_60
; %bb.57:
	v_cmp_nlt_f32_e32 vcc, v22, v20
	s_mov_b64 s[18:19], -1
	s_and_saveexec_b64 s[22:23], vcc
; %bb.58:
	v_cmp_nlt_f32_e32 vcc, v21, v23
	s_orn2_b64 s[18:19], vcc, exec
; %bb.59:
	s_or_b64 exec, exec, s[22:23]
	s_and_b64 s[18:19], s[18:19], exec
.LBB37_60:
	s_or_b64 exec, exec, s[0:1]
	s_orn2_b64 s[18:19], s[18:19], exec
.LBB37_61:
	s_or_b64 exec, exec, s[20:21]
	v_cndmask_b32_e64 v10, v14, v15, s[18:19]
	v_cndmask_b32_e64 v11, v19, v1, s[18:19]
	v_add_u32_e32 v26, 1, v10
	v_add_u32_e32 v10, -1, v11
	v_min_u32_e32 v10, v26, v10
	v_lshlrev_b32_e32 v10, 3, v10
	ds_read_b64 v[24:25], v10
	v_cndmask_b32_e64 v14, v26, v14, s[18:19]
	v_cndmask_b32_e64 v15, v15, v26, s[18:19]
	v_cmp_lt_u32_e32 vcc, v14, v19
	s_mov_b64 s[22:23], -1
	s_waitcnt lgkmcnt(0)
	v_cndmask_b32_e64 v10, v24, v20, s[18:19]
	v_cndmask_b32_e64 v11, v25, v21, s[18:19]
	;; [unrolled: 1-line block ×4, first 2 shown]
	s_mov_b64 s[20:21], -1
	s_and_saveexec_b64 s[24:25], vcc
	s_cbranch_execz .LBB37_67
; %bb.62:
	v_cmp_lt_u32_e32 vcc, v15, v1
	v_cmp_nlt_f32_e64 s[0:1], v10, v24
	s_and_b64 s[26:27], vcc, s[0:1]
	s_mov_b64 s[20:21], 0
	s_and_saveexec_b64 s[0:1], s[26:27]
	s_cbranch_execz .LBB37_66
; %bb.63:
	v_cmp_nlt_f32_e32 vcc, v24, v10
	s_mov_b64 s[20:21], -1
	s_and_saveexec_b64 s[26:27], vcc
; %bb.64:
	v_cmp_nlt_f32_e32 vcc, v11, v25
	s_orn2_b64 s[20:21], vcc, exec
; %bb.65:
	s_or_b64 exec, exec, s[26:27]
	s_and_b64 s[20:21], s[20:21], exec
.LBB37_66:
	s_or_b64 exec, exec, s[0:1]
	s_orn2_b64 s[20:21], s[20:21], exec
.LBB37_67:
	s_or_b64 exec, exec, s[24:25]
	v_cndmask_b32_e64 v26, v14, v15, s[20:21]
	v_cndmask_b32_e64 v27, v19, v1, s[20:21]
	v_add_u32_e32 v30, 1, v26
	v_add_u32_e32 v26, -1, v27
	v_min_u32_e32 v26, v30, v26
	v_lshlrev_b32_e32 v26, 3, v26
	ds_read_b64 v[28:29], v26
	v_cndmask_b32_e64 v32, v30, v14, s[20:21]
	v_cndmask_b32_e64 v33, v15, v30, s[20:21]
	v_cmp_lt_u32_e32 vcc, v32, v19
	s_waitcnt lgkmcnt(0)
	v_cndmask_b32_e64 v26, v28, v10, s[20:21]
	v_cndmask_b32_e64 v27, v29, v11, s[20:21]
	;; [unrolled: 1-line block ×4, first 2 shown]
	s_and_saveexec_b64 s[24:25], vcc
	s_cbranch_execz .LBB37_73
; %bb.68:
	v_cmp_lt_u32_e32 vcc, v33, v1
	v_cmp_nlt_f32_e64 s[0:1], v26, v28
	s_and_b64 s[26:27], vcc, s[0:1]
	s_mov_b64 s[22:23], 0
	s_and_saveexec_b64 s[0:1], s[26:27]
	s_cbranch_execz .LBB37_72
; %bb.69:
	v_cmp_nlt_f32_e32 vcc, v28, v26
	s_mov_b64 s[22:23], -1
	s_and_saveexec_b64 s[26:27], vcc
; %bb.70:
	v_cmp_nlt_f32_e32 vcc, v27, v29
	s_orn2_b64 s[22:23], vcc, exec
; %bb.71:
	s_or_b64 exec, exec, s[26:27]
	s_and_b64 s[22:23], s[22:23], exec
.LBB37_72:
	s_or_b64 exec, exec, s[0:1]
	s_orn2_b64 s[22:23], s[22:23], exec
.LBB37_73:
	s_or_b64 exec, exec, s[24:25]
	v_cndmask_b32_e64 v14, v32, v33, s[22:23]
	v_cndmask_b32_e64 v15, v19, v1, s[22:23]
	v_add_u32_e32 v34, 1, v14
	v_add_u32_e32 v14, -1, v15
	v_min_u32_e32 v14, v34, v14
	v_lshlrev_b32_e32 v14, 3, v14
	ds_read_b64 v[30:31], v14
	v_cndmask_b32_e64 v37, v34, v32, s[22:23]
	v_cndmask_b32_e64 v36, v33, v34, s[22:23]
	v_cmp_lt_u32_e32 vcc, v37, v19
	s_mov_b64 s[24:25], -1
	s_waitcnt lgkmcnt(0)
	v_cndmask_b32_e64 v14, v30, v26, s[22:23]
	v_cndmask_b32_e64 v15, v31, v27, s[22:23]
	;; [unrolled: 1-line block ×4, first 2 shown]
	s_mov_b64 s[26:27], -1
	s_and_saveexec_b64 s[28:29], vcc
	s_cbranch_execz .LBB37_79
; %bb.74:
	v_cmp_lt_u32_e32 vcc, v36, v1
	v_cmp_nlt_f32_e64 s[0:1], v14, v30
	s_and_b64 s[30:31], vcc, s[0:1]
	s_mov_b64 s[26:27], 0
	s_and_saveexec_b64 s[0:1], s[30:31]
	s_cbranch_execz .LBB37_78
; %bb.75:
	v_cmp_nlt_f32_e32 vcc, v30, v14
	s_mov_b64 s[26:27], -1
	s_and_saveexec_b64 s[30:31], vcc
; %bb.76:
	v_cmp_nlt_f32_e32 vcc, v15, v31
	s_orn2_b64 s[26:27], vcc, exec
; %bb.77:
	s_or_b64 exec, exec, s[30:31]
	s_and_b64 s[26:27], s[26:27], exec
.LBB37_78:
	s_or_b64 exec, exec, s[0:1]
	s_orn2_b64 s[26:27], s[26:27], exec
.LBB37_79:
	s_or_b64 exec, exec, s[28:29]
	v_cndmask_b32_e64 v32, v37, v36, s[26:27]
	v_cndmask_b32_e64 v33, v19, v1, s[26:27]
	v_add_u32_e32 v38, 1, v32
	v_add_u32_e32 v32, -1, v33
	v_min_u32_e32 v32, v38, v32
	v_lshlrev_b32_e32 v32, 3, v32
	ds_read_b64 v[34:35], v32
	v_cndmask_b32_e64 v37, v38, v37, s[26:27]
	v_cmp_lt_u32_e32 vcc, v37, v19
	s_waitcnt lgkmcnt(0)
	v_cndmask_b32_e64 v32, v34, v14, s[26:27]
	v_cndmask_b32_e64 v33, v35, v15, s[26:27]
	;; [unrolled: 1-line block ×4, first 2 shown]
	s_and_saveexec_b64 s[28:29], vcc
	s_cbranch_execz .LBB37_85
; %bb.80:
	v_cndmask_b32_e64 v19, v36, v38, s[26:27]
	v_cmp_lt_u32_e32 vcc, v19, v1
	v_cmp_nlt_f32_e64 s[0:1], v32, v34
	s_and_b64 s[30:31], vcc, s[0:1]
	s_mov_b64 s[24:25], 0
	s_and_saveexec_b64 s[0:1], s[30:31]
	s_cbranch_execz .LBB37_84
; %bb.81:
	v_cmp_nlt_f32_e32 vcc, v34, v32
	s_mov_b64 s[24:25], -1
	s_and_saveexec_b64 s[30:31], vcc
; %bb.82:
	v_cmp_nlt_f32_e32 vcc, v33, v35
	s_orn2_b64 s[24:25], vcc, exec
; %bb.83:
	s_or_b64 exec, exec, s[30:31]
	s_and_b64 s[24:25], s[24:25], exec
.LBB37_84:
	s_or_b64 exec, exec, s[0:1]
	s_orn2_b64 s[24:25], s[24:25], exec
.LBB37_85:
	s_or_b64 exec, exec, s[28:29]
	v_cndmask_b32_e64 v15, v15, v31, s[26:27]
	v_cndmask_b32_e64 v14, v14, v30, s[26:27]
	;; [unrolled: 1-line block ×16, first 2 shown]
.LBB37_86:
	s_or_b64 exec, exec, s[2:3]
	v_lshrrev_b32_e32 v1, 2, v0
	v_lshlrev_b32_e32 v4, 3, v18
	v_lshl_add_u32 v4, v1, 3, v4
	s_barrier
	s_barrier
	ds_write2_b64 v4, v[2:3], v[20:21] offset1:1
	ds_write2_b64 v4, v[6:7], v[22:23] offset0:2 offset1:3
	ds_write2_b64 v4, v[10:11], v[26:27] offset0:4 offset1:5
	;; [unrolled: 1-line block ×3, first 2 shown]
	v_and_b32_e32 v1, 24, v1
	v_or_b32_e32 v22, 0x80, v0
	v_add_u32_e32 v23, v18, v1
	v_lshrrev_b32_e32 v1, 2, v22
	v_and_b32_e32 v1, 56, v1
	v_or_b32_e32 v21, 0x100, v0
	v_add_u32_e32 v2, v18, v1
	v_lshrrev_b32_e32 v1, 2, v21
	;; [unrolled: 4-line block ×3, first 2 shown]
	v_and_b32_e32 v1, 0x78, v1
	v_add_u32_e32 v4, v18, v1
	v_or_b32_e32 v1, 0x200, v0
	s_lshl_b64 s[0:1], s[16:17], 3
	v_lshrrev_b32_e32 v5, 2, v1
	s_add_u32 s0, s10, s0
	v_and_b32_e32 v5, 0x98, v5
	v_mov_b32_e32 v19, 0
	s_addc_u32 s1, s11, s1
	v_add_u32_e32 v5, v18, v5
	s_mov_b64 s[2:3], -1
	s_and_b64 vcc, exec, s[6:7]
	s_waitcnt lgkmcnt(0)
	s_cbranch_vccz .LBB37_88
; %bb.87:
	v_or_b32_e32 v6, 0x280, v0
	v_lshrrev_b32_e32 v6, 2, v6
	v_and_b32_e32 v6, 0xb8, v6
	v_add_u32_e32 v16, v18, v6
	v_or_b32_e32 v6, 0x300, v0
	v_lshrrev_b32_e32 v6, 2, v6
	v_and_b32_e32 v6, 0xd8, v6
	v_add_u32_e32 v17, v18, v6
	v_or_b32_e32 v6, 0x380, v0
	v_lshrrev_b32_e32 v6, 2, v6
	v_and_b32_e32 v6, 0xf8, v6
	s_barrier
	v_add_u32_e32 v24, v18, v6
	ds_read_b64 v[6:7], v23
	ds_read_b64 v[8:9], v2 offset:1024
	ds_read_b64 v[10:11], v3 offset:2048
	;; [unrolled: 1-line block ×3, first 2 shown]
	s_waitcnt lgkmcnt(3)
	global_store_dwordx2 v18, v[6:7], s[0:1]
	s_waitcnt lgkmcnt(2)
	global_store_dwordx2 v18, v[8:9], s[0:1] offset:1024
	s_waitcnt lgkmcnt(1)
	global_store_dwordx2 v18, v[10:11], s[0:1] offset:2048
	;; [unrolled: 2-line block ×3, first 2 shown]
	ds_read_b64 v[8:9], v5 offset:4096
	ds_read_b64 v[10:11], v16 offset:5120
	;; [unrolled: 1-line block ×4, first 2 shown]
	v_lshl_add_u64 v[14:15], s[0:1], 0, v[18:19]
	v_add_co_u32_e32 v6, vcc, 0x1000, v14
	s_mov_b64 s[2:3], 0
	s_nop 0
	v_addc_co_u32_e32 v7, vcc, 0, v15, vcc
	s_waitcnt lgkmcnt(3)
	global_store_dwordx2 v[6:7], v[8:9], off
	s_waitcnt lgkmcnt(2)
	global_store_dwordx2 v[6:7], v[10:11], off offset:1024
	s_waitcnt lgkmcnt(1)
	global_store_dwordx2 v[6:7], v[12:13], off offset:2048
	;; [unrolled: 2-line block ×3, first 2 shown]
.LBB37_88:
	s_andn2_b64 vcc, exec, s[2:3]
	s_cbranch_vccnz .LBB37_98
; %bb.89:
	v_or_b32_e32 v26, 0x280, v0
	v_or_b32_e32 v25, 0x300, v0
	s_barrier
	ds_read_b64 v[16:17], v2 offset:1024
	ds_read_b64 v[14:15], v3 offset:2048
	ds_read_b64 v[12:13], v4 offset:3072
	ds_read_b64 v[10:11], v5 offset:4096
	v_lshrrev_b32_e32 v2, 2, v26
	v_lshrrev_b32_e32 v3, 2, v25
	v_or_b32_e32 v24, 0x380, v0
	v_and_b32_e32 v2, 0xb8, v2
	v_and_b32_e32 v3, 0xd8, v3
	v_lshrrev_b32_e32 v4, 2, v24
	v_add_u32_e32 v2, v18, v2
	v_add_u32_e32 v3, v18, v3
	v_and_b32_e32 v4, 0xf8, v4
	v_add_u32_e32 v4, v18, v4
	ds_read_b64 v[8:9], v2 offset:5120
	ds_read_b64 v[6:7], v3 offset:6144
	;; [unrolled: 1-line block ×3, first 2 shown]
	s_sub_i32 s2, s4, s16
	v_mov_b32_e32 v19, 0
	v_lshl_add_u64 v[4:5], s[0:1], 0, v[18:19]
	v_cmp_gt_u32_e32 vcc, s2, v0
	s_and_saveexec_b64 s[0:1], vcc
	s_cbranch_execnz .LBB37_99
; %bb.90:
	s_or_b64 exec, exec, s[0:1]
	v_cmp_gt_u32_e32 vcc, s2, v22
	s_and_saveexec_b64 s[0:1], vcc
	s_cbranch_execnz .LBB37_100
.LBB37_91:
	s_or_b64 exec, exec, s[0:1]
	v_cmp_gt_u32_e32 vcc, s2, v21
	s_and_saveexec_b64 s[0:1], vcc
	s_cbranch_execnz .LBB37_101
.LBB37_92:
	s_or_b64 exec, exec, s[0:1]
	v_cmp_gt_u32_e32 vcc, s2, v20
	s_and_saveexec_b64 s[0:1], vcc
	s_cbranch_execnz .LBB37_102
.LBB37_93:
	s_or_b64 exec, exec, s[0:1]
	v_cmp_gt_u32_e32 vcc, s2, v1
	s_and_saveexec_b64 s[0:1], vcc
	s_cbranch_execnz .LBB37_103
.LBB37_94:
	s_or_b64 exec, exec, s[0:1]
	v_cmp_gt_u32_e32 vcc, s2, v26
	s_and_saveexec_b64 s[0:1], vcc
	s_cbranch_execnz .LBB37_104
.LBB37_95:
	s_or_b64 exec, exec, s[0:1]
	v_cmp_gt_u32_e32 vcc, s2, v25
	s_and_saveexec_b64 s[0:1], vcc
	s_cbranch_execnz .LBB37_105
.LBB37_96:
	s_or_b64 exec, exec, s[0:1]
	v_cmp_gt_u32_e32 vcc, s2, v24
	s_and_saveexec_b64 s[0:1], vcc
	s_cbranch_execz .LBB37_98
.LBB37_97:
	v_add_co_u32_e32 v0, vcc, 0x1000, v4
	s_nop 1
	v_addc_co_u32_e32 v1, vcc, 0, v5, vcc
	s_waitcnt lgkmcnt(0)
	global_store_dwordx2 v[0:1], v[2:3], off offset:3072
.LBB37_98:
	s_endpgm
.LBB37_99:
	ds_read_b64 v[18:19], v23
	s_waitcnt lgkmcnt(0)
	global_store_dwordx2 v[4:5], v[18:19], off
	s_or_b64 exec, exec, s[0:1]
	v_cmp_gt_u32_e32 vcc, s2, v22
	s_and_saveexec_b64 s[0:1], vcc
	s_cbranch_execz .LBB37_91
.LBB37_100:
	s_waitcnt lgkmcnt(6)
	global_store_dwordx2 v[4:5], v[16:17], off offset:1024
	s_or_b64 exec, exec, s[0:1]
	v_cmp_gt_u32_e32 vcc, s2, v21
	s_and_saveexec_b64 s[0:1], vcc
	s_cbranch_execz .LBB37_92
.LBB37_101:
	s_waitcnt lgkmcnt(5)
	global_store_dwordx2 v[4:5], v[14:15], off offset:2048
	s_or_b64 exec, exec, s[0:1]
	v_cmp_gt_u32_e32 vcc, s2, v20
	s_and_saveexec_b64 s[0:1], vcc
	s_cbranch_execz .LBB37_93
.LBB37_102:
	s_waitcnt lgkmcnt(4)
	global_store_dwordx2 v[4:5], v[12:13], off offset:3072
	s_or_b64 exec, exec, s[0:1]
	v_cmp_gt_u32_e32 vcc, s2, v1
	s_and_saveexec_b64 s[0:1], vcc
	s_cbranch_execz .LBB37_94
.LBB37_103:
	v_add_co_u32_e32 v0, vcc, 0x1000, v4
	s_nop 1
	v_addc_co_u32_e32 v1, vcc, 0, v5, vcc
	s_waitcnt lgkmcnt(3)
	global_store_dwordx2 v[0:1], v[10:11], off
	s_or_b64 exec, exec, s[0:1]
	v_cmp_gt_u32_e32 vcc, s2, v26
	s_and_saveexec_b64 s[0:1], vcc
	s_cbranch_execz .LBB37_95
.LBB37_104:
	v_add_co_u32_e32 v0, vcc, 0x1000, v4
	s_nop 1
	v_addc_co_u32_e32 v1, vcc, 0, v5, vcc
	s_waitcnt lgkmcnt(2)
	global_store_dwordx2 v[0:1], v[8:9], off offset:1024
	s_or_b64 exec, exec, s[0:1]
	v_cmp_gt_u32_e32 vcc, s2, v25
	s_and_saveexec_b64 s[0:1], vcc
	s_cbranch_execz .LBB37_96
.LBB37_105:
	v_add_co_u32_e32 v0, vcc, 0x1000, v4
	s_nop 1
	v_addc_co_u32_e32 v1, vcc, 0, v5, vcc
	s_waitcnt lgkmcnt(1)
	global_store_dwordx2 v[0:1], v[6:7], off offset:2048
	s_or_b64 exec, exec, s[0:1]
	v_cmp_gt_u32_e32 vcc, s2, v24
	s_and_saveexec_b64 s[0:1], vcc
	s_cbranch_execnz .LBB37_97
	s_branch .LBB37_98
	.section	.rodata,"a",@progbits
	.p2align	6, 0x0
	.amdhsa_kernel _ZN7rocprim17ROCPRIM_400000_NS6detail17trampoline_kernelINS0_14default_configENS1_38merge_sort_block_merge_config_selectorIN6thrust23THRUST_200600_302600_NS5tupleIffNS6_9null_typeES8_S8_S8_S8_S8_S8_S8_EENS0_10empty_typeEEEZZNS1_27merge_sort_block_merge_implIS3_NS6_6detail15normal_iteratorINS6_10device_ptrIS9_EEEEPSA_mNS6_4lessIS9_EEEE10hipError_tT0_T1_T2_jT3_P12ihipStream_tbPNSt15iterator_traitsISM_E10value_typeEPNSS_ISN_E10value_typeEPSO_NS1_7vsmem_tEENKUlT_SM_SN_SO_E_clIPS9_SH_SI_SI_EESL_S11_SM_SN_SO_EUlS11_E0_NS1_11comp_targetILNS1_3genE5ELNS1_11target_archE942ELNS1_3gpuE9ELNS1_3repE0EEENS1_38merge_mergepath_config_static_selectorELNS0_4arch9wavefront6targetE1EEEvSN_
		.amdhsa_group_segment_fixed_size 8448
		.amdhsa_private_segment_fixed_size 0
		.amdhsa_kernarg_size 328
		.amdhsa_user_sgpr_count 2
		.amdhsa_user_sgpr_dispatch_ptr 0
		.amdhsa_user_sgpr_queue_ptr 0
		.amdhsa_user_sgpr_kernarg_segment_ptr 1
		.amdhsa_user_sgpr_dispatch_id 0
		.amdhsa_user_sgpr_kernarg_preload_length 0
		.amdhsa_user_sgpr_kernarg_preload_offset 0
		.amdhsa_user_sgpr_private_segment_size 0
		.amdhsa_uses_dynamic_stack 0
		.amdhsa_enable_private_segment 0
		.amdhsa_system_sgpr_workgroup_id_x 1
		.amdhsa_system_sgpr_workgroup_id_y 1
		.amdhsa_system_sgpr_workgroup_id_z 1
		.amdhsa_system_sgpr_workgroup_info 0
		.amdhsa_system_vgpr_workitem_id 0
		.amdhsa_next_free_vgpr 39
		.amdhsa_next_free_sgpr 32
		.amdhsa_accum_offset 40
		.amdhsa_reserve_vcc 1
		.amdhsa_float_round_mode_32 0
		.amdhsa_float_round_mode_16_64 0
		.amdhsa_float_denorm_mode_32 3
		.amdhsa_float_denorm_mode_16_64 3
		.amdhsa_dx10_clamp 1
		.amdhsa_ieee_mode 1
		.amdhsa_fp16_overflow 0
		.amdhsa_tg_split 0
		.amdhsa_exception_fp_ieee_invalid_op 0
		.amdhsa_exception_fp_denorm_src 0
		.amdhsa_exception_fp_ieee_div_zero 0
		.amdhsa_exception_fp_ieee_overflow 0
		.amdhsa_exception_fp_ieee_underflow 0
		.amdhsa_exception_fp_ieee_inexact 0
		.amdhsa_exception_int_div_zero 0
	.end_amdhsa_kernel
	.section	.text._ZN7rocprim17ROCPRIM_400000_NS6detail17trampoline_kernelINS0_14default_configENS1_38merge_sort_block_merge_config_selectorIN6thrust23THRUST_200600_302600_NS5tupleIffNS6_9null_typeES8_S8_S8_S8_S8_S8_S8_EENS0_10empty_typeEEEZZNS1_27merge_sort_block_merge_implIS3_NS6_6detail15normal_iteratorINS6_10device_ptrIS9_EEEEPSA_mNS6_4lessIS9_EEEE10hipError_tT0_T1_T2_jT3_P12ihipStream_tbPNSt15iterator_traitsISM_E10value_typeEPNSS_ISN_E10value_typeEPSO_NS1_7vsmem_tEENKUlT_SM_SN_SO_E_clIPS9_SH_SI_SI_EESL_S11_SM_SN_SO_EUlS11_E0_NS1_11comp_targetILNS1_3genE5ELNS1_11target_archE942ELNS1_3gpuE9ELNS1_3repE0EEENS1_38merge_mergepath_config_static_selectorELNS0_4arch9wavefront6targetE1EEEvSN_,"axG",@progbits,_ZN7rocprim17ROCPRIM_400000_NS6detail17trampoline_kernelINS0_14default_configENS1_38merge_sort_block_merge_config_selectorIN6thrust23THRUST_200600_302600_NS5tupleIffNS6_9null_typeES8_S8_S8_S8_S8_S8_S8_EENS0_10empty_typeEEEZZNS1_27merge_sort_block_merge_implIS3_NS6_6detail15normal_iteratorINS6_10device_ptrIS9_EEEEPSA_mNS6_4lessIS9_EEEE10hipError_tT0_T1_T2_jT3_P12ihipStream_tbPNSt15iterator_traitsISM_E10value_typeEPNSS_ISN_E10value_typeEPSO_NS1_7vsmem_tEENKUlT_SM_SN_SO_E_clIPS9_SH_SI_SI_EESL_S11_SM_SN_SO_EUlS11_E0_NS1_11comp_targetILNS1_3genE5ELNS1_11target_archE942ELNS1_3gpuE9ELNS1_3repE0EEENS1_38merge_mergepath_config_static_selectorELNS0_4arch9wavefront6targetE1EEEvSN_,comdat
.Lfunc_end37:
	.size	_ZN7rocprim17ROCPRIM_400000_NS6detail17trampoline_kernelINS0_14default_configENS1_38merge_sort_block_merge_config_selectorIN6thrust23THRUST_200600_302600_NS5tupleIffNS6_9null_typeES8_S8_S8_S8_S8_S8_S8_EENS0_10empty_typeEEEZZNS1_27merge_sort_block_merge_implIS3_NS6_6detail15normal_iteratorINS6_10device_ptrIS9_EEEEPSA_mNS6_4lessIS9_EEEE10hipError_tT0_T1_T2_jT3_P12ihipStream_tbPNSt15iterator_traitsISM_E10value_typeEPNSS_ISN_E10value_typeEPSO_NS1_7vsmem_tEENKUlT_SM_SN_SO_E_clIPS9_SH_SI_SI_EESL_S11_SM_SN_SO_EUlS11_E0_NS1_11comp_targetILNS1_3genE5ELNS1_11target_archE942ELNS1_3gpuE9ELNS1_3repE0EEENS1_38merge_mergepath_config_static_selectorELNS0_4arch9wavefront6targetE1EEEvSN_, .Lfunc_end37-_ZN7rocprim17ROCPRIM_400000_NS6detail17trampoline_kernelINS0_14default_configENS1_38merge_sort_block_merge_config_selectorIN6thrust23THRUST_200600_302600_NS5tupleIffNS6_9null_typeES8_S8_S8_S8_S8_S8_S8_EENS0_10empty_typeEEEZZNS1_27merge_sort_block_merge_implIS3_NS6_6detail15normal_iteratorINS6_10device_ptrIS9_EEEEPSA_mNS6_4lessIS9_EEEE10hipError_tT0_T1_T2_jT3_P12ihipStream_tbPNSt15iterator_traitsISM_E10value_typeEPNSS_ISN_E10value_typeEPSO_NS1_7vsmem_tEENKUlT_SM_SN_SO_E_clIPS9_SH_SI_SI_EESL_S11_SM_SN_SO_EUlS11_E0_NS1_11comp_targetILNS1_3genE5ELNS1_11target_archE942ELNS1_3gpuE9ELNS1_3repE0EEENS1_38merge_mergepath_config_static_selectorELNS0_4arch9wavefront6targetE1EEEvSN_
                                        ; -- End function
	.section	.AMDGPU.csdata,"",@progbits
; Kernel info:
; codeLenInByte = 4424
; NumSgprs: 38
; NumVgprs: 39
; NumAgprs: 0
; TotalNumVgprs: 39
; ScratchSize: 0
; MemoryBound: 0
; FloatMode: 240
; IeeeMode: 1
; LDSByteSize: 8448 bytes/workgroup (compile time only)
; SGPRBlocks: 4
; VGPRBlocks: 4
; NumSGPRsForWavesPerEU: 38
; NumVGPRsForWavesPerEU: 39
; AccumOffset: 40
; Occupancy: 4
; WaveLimiterHint : 1
; COMPUTE_PGM_RSRC2:SCRATCH_EN: 0
; COMPUTE_PGM_RSRC2:USER_SGPR: 2
; COMPUTE_PGM_RSRC2:TRAP_HANDLER: 0
; COMPUTE_PGM_RSRC2:TGID_X_EN: 1
; COMPUTE_PGM_RSRC2:TGID_Y_EN: 1
; COMPUTE_PGM_RSRC2:TGID_Z_EN: 1
; COMPUTE_PGM_RSRC2:TIDIG_COMP_CNT: 0
; COMPUTE_PGM_RSRC3_GFX90A:ACCUM_OFFSET: 9
; COMPUTE_PGM_RSRC3_GFX90A:TG_SPLIT: 0
	.section	.text._ZN7rocprim17ROCPRIM_400000_NS6detail17trampoline_kernelINS0_14default_configENS1_38merge_sort_block_merge_config_selectorIN6thrust23THRUST_200600_302600_NS5tupleIffNS6_9null_typeES8_S8_S8_S8_S8_S8_S8_EENS0_10empty_typeEEEZZNS1_27merge_sort_block_merge_implIS3_NS6_6detail15normal_iteratorINS6_10device_ptrIS9_EEEEPSA_mNS6_4lessIS9_EEEE10hipError_tT0_T1_T2_jT3_P12ihipStream_tbPNSt15iterator_traitsISM_E10value_typeEPNSS_ISN_E10value_typeEPSO_NS1_7vsmem_tEENKUlT_SM_SN_SO_E_clIPS9_SH_SI_SI_EESL_S11_SM_SN_SO_EUlS11_E0_NS1_11comp_targetILNS1_3genE4ELNS1_11target_archE910ELNS1_3gpuE8ELNS1_3repE0EEENS1_38merge_mergepath_config_static_selectorELNS0_4arch9wavefront6targetE1EEEvSN_,"axG",@progbits,_ZN7rocprim17ROCPRIM_400000_NS6detail17trampoline_kernelINS0_14default_configENS1_38merge_sort_block_merge_config_selectorIN6thrust23THRUST_200600_302600_NS5tupleIffNS6_9null_typeES8_S8_S8_S8_S8_S8_S8_EENS0_10empty_typeEEEZZNS1_27merge_sort_block_merge_implIS3_NS6_6detail15normal_iteratorINS6_10device_ptrIS9_EEEEPSA_mNS6_4lessIS9_EEEE10hipError_tT0_T1_T2_jT3_P12ihipStream_tbPNSt15iterator_traitsISM_E10value_typeEPNSS_ISN_E10value_typeEPSO_NS1_7vsmem_tEENKUlT_SM_SN_SO_E_clIPS9_SH_SI_SI_EESL_S11_SM_SN_SO_EUlS11_E0_NS1_11comp_targetILNS1_3genE4ELNS1_11target_archE910ELNS1_3gpuE8ELNS1_3repE0EEENS1_38merge_mergepath_config_static_selectorELNS0_4arch9wavefront6targetE1EEEvSN_,comdat
	.protected	_ZN7rocprim17ROCPRIM_400000_NS6detail17trampoline_kernelINS0_14default_configENS1_38merge_sort_block_merge_config_selectorIN6thrust23THRUST_200600_302600_NS5tupleIffNS6_9null_typeES8_S8_S8_S8_S8_S8_S8_EENS0_10empty_typeEEEZZNS1_27merge_sort_block_merge_implIS3_NS6_6detail15normal_iteratorINS6_10device_ptrIS9_EEEEPSA_mNS6_4lessIS9_EEEE10hipError_tT0_T1_T2_jT3_P12ihipStream_tbPNSt15iterator_traitsISM_E10value_typeEPNSS_ISN_E10value_typeEPSO_NS1_7vsmem_tEENKUlT_SM_SN_SO_E_clIPS9_SH_SI_SI_EESL_S11_SM_SN_SO_EUlS11_E0_NS1_11comp_targetILNS1_3genE4ELNS1_11target_archE910ELNS1_3gpuE8ELNS1_3repE0EEENS1_38merge_mergepath_config_static_selectorELNS0_4arch9wavefront6targetE1EEEvSN_ ; -- Begin function _ZN7rocprim17ROCPRIM_400000_NS6detail17trampoline_kernelINS0_14default_configENS1_38merge_sort_block_merge_config_selectorIN6thrust23THRUST_200600_302600_NS5tupleIffNS6_9null_typeES8_S8_S8_S8_S8_S8_S8_EENS0_10empty_typeEEEZZNS1_27merge_sort_block_merge_implIS3_NS6_6detail15normal_iteratorINS6_10device_ptrIS9_EEEEPSA_mNS6_4lessIS9_EEEE10hipError_tT0_T1_T2_jT3_P12ihipStream_tbPNSt15iterator_traitsISM_E10value_typeEPNSS_ISN_E10value_typeEPSO_NS1_7vsmem_tEENKUlT_SM_SN_SO_E_clIPS9_SH_SI_SI_EESL_S11_SM_SN_SO_EUlS11_E0_NS1_11comp_targetILNS1_3genE4ELNS1_11target_archE910ELNS1_3gpuE8ELNS1_3repE0EEENS1_38merge_mergepath_config_static_selectorELNS0_4arch9wavefront6targetE1EEEvSN_
	.globl	_ZN7rocprim17ROCPRIM_400000_NS6detail17trampoline_kernelINS0_14default_configENS1_38merge_sort_block_merge_config_selectorIN6thrust23THRUST_200600_302600_NS5tupleIffNS6_9null_typeES8_S8_S8_S8_S8_S8_S8_EENS0_10empty_typeEEEZZNS1_27merge_sort_block_merge_implIS3_NS6_6detail15normal_iteratorINS6_10device_ptrIS9_EEEEPSA_mNS6_4lessIS9_EEEE10hipError_tT0_T1_T2_jT3_P12ihipStream_tbPNSt15iterator_traitsISM_E10value_typeEPNSS_ISN_E10value_typeEPSO_NS1_7vsmem_tEENKUlT_SM_SN_SO_E_clIPS9_SH_SI_SI_EESL_S11_SM_SN_SO_EUlS11_E0_NS1_11comp_targetILNS1_3genE4ELNS1_11target_archE910ELNS1_3gpuE8ELNS1_3repE0EEENS1_38merge_mergepath_config_static_selectorELNS0_4arch9wavefront6targetE1EEEvSN_
	.p2align	8
	.type	_ZN7rocprim17ROCPRIM_400000_NS6detail17trampoline_kernelINS0_14default_configENS1_38merge_sort_block_merge_config_selectorIN6thrust23THRUST_200600_302600_NS5tupleIffNS6_9null_typeES8_S8_S8_S8_S8_S8_S8_EENS0_10empty_typeEEEZZNS1_27merge_sort_block_merge_implIS3_NS6_6detail15normal_iteratorINS6_10device_ptrIS9_EEEEPSA_mNS6_4lessIS9_EEEE10hipError_tT0_T1_T2_jT3_P12ihipStream_tbPNSt15iterator_traitsISM_E10value_typeEPNSS_ISN_E10value_typeEPSO_NS1_7vsmem_tEENKUlT_SM_SN_SO_E_clIPS9_SH_SI_SI_EESL_S11_SM_SN_SO_EUlS11_E0_NS1_11comp_targetILNS1_3genE4ELNS1_11target_archE910ELNS1_3gpuE8ELNS1_3repE0EEENS1_38merge_mergepath_config_static_selectorELNS0_4arch9wavefront6targetE1EEEvSN_,@function
_ZN7rocprim17ROCPRIM_400000_NS6detail17trampoline_kernelINS0_14default_configENS1_38merge_sort_block_merge_config_selectorIN6thrust23THRUST_200600_302600_NS5tupleIffNS6_9null_typeES8_S8_S8_S8_S8_S8_S8_EENS0_10empty_typeEEEZZNS1_27merge_sort_block_merge_implIS3_NS6_6detail15normal_iteratorINS6_10device_ptrIS9_EEEEPSA_mNS6_4lessIS9_EEEE10hipError_tT0_T1_T2_jT3_P12ihipStream_tbPNSt15iterator_traitsISM_E10value_typeEPNSS_ISN_E10value_typeEPSO_NS1_7vsmem_tEENKUlT_SM_SN_SO_E_clIPS9_SH_SI_SI_EESL_S11_SM_SN_SO_EUlS11_E0_NS1_11comp_targetILNS1_3genE4ELNS1_11target_archE910ELNS1_3gpuE8ELNS1_3repE0EEENS1_38merge_mergepath_config_static_selectorELNS0_4arch9wavefront6targetE1EEEvSN_: ; @_ZN7rocprim17ROCPRIM_400000_NS6detail17trampoline_kernelINS0_14default_configENS1_38merge_sort_block_merge_config_selectorIN6thrust23THRUST_200600_302600_NS5tupleIffNS6_9null_typeES8_S8_S8_S8_S8_S8_S8_EENS0_10empty_typeEEEZZNS1_27merge_sort_block_merge_implIS3_NS6_6detail15normal_iteratorINS6_10device_ptrIS9_EEEEPSA_mNS6_4lessIS9_EEEE10hipError_tT0_T1_T2_jT3_P12ihipStream_tbPNSt15iterator_traitsISM_E10value_typeEPNSS_ISN_E10value_typeEPSO_NS1_7vsmem_tEENKUlT_SM_SN_SO_E_clIPS9_SH_SI_SI_EESL_S11_SM_SN_SO_EUlS11_E0_NS1_11comp_targetILNS1_3genE4ELNS1_11target_archE910ELNS1_3gpuE8ELNS1_3repE0EEENS1_38merge_mergepath_config_static_selectorELNS0_4arch9wavefront6targetE1EEEvSN_
; %bb.0:
	.section	.rodata,"a",@progbits
	.p2align	6, 0x0
	.amdhsa_kernel _ZN7rocprim17ROCPRIM_400000_NS6detail17trampoline_kernelINS0_14default_configENS1_38merge_sort_block_merge_config_selectorIN6thrust23THRUST_200600_302600_NS5tupleIffNS6_9null_typeES8_S8_S8_S8_S8_S8_S8_EENS0_10empty_typeEEEZZNS1_27merge_sort_block_merge_implIS3_NS6_6detail15normal_iteratorINS6_10device_ptrIS9_EEEEPSA_mNS6_4lessIS9_EEEE10hipError_tT0_T1_T2_jT3_P12ihipStream_tbPNSt15iterator_traitsISM_E10value_typeEPNSS_ISN_E10value_typeEPSO_NS1_7vsmem_tEENKUlT_SM_SN_SO_E_clIPS9_SH_SI_SI_EESL_S11_SM_SN_SO_EUlS11_E0_NS1_11comp_targetILNS1_3genE4ELNS1_11target_archE910ELNS1_3gpuE8ELNS1_3repE0EEENS1_38merge_mergepath_config_static_selectorELNS0_4arch9wavefront6targetE1EEEvSN_
		.amdhsa_group_segment_fixed_size 0
		.amdhsa_private_segment_fixed_size 0
		.amdhsa_kernarg_size 72
		.amdhsa_user_sgpr_count 2
		.amdhsa_user_sgpr_dispatch_ptr 0
		.amdhsa_user_sgpr_queue_ptr 0
		.amdhsa_user_sgpr_kernarg_segment_ptr 1
		.amdhsa_user_sgpr_dispatch_id 0
		.amdhsa_user_sgpr_kernarg_preload_length 0
		.amdhsa_user_sgpr_kernarg_preload_offset 0
		.amdhsa_user_sgpr_private_segment_size 0
		.amdhsa_uses_dynamic_stack 0
		.amdhsa_enable_private_segment 0
		.amdhsa_system_sgpr_workgroup_id_x 1
		.amdhsa_system_sgpr_workgroup_id_y 0
		.amdhsa_system_sgpr_workgroup_id_z 0
		.amdhsa_system_sgpr_workgroup_info 0
		.amdhsa_system_vgpr_workitem_id 0
		.amdhsa_next_free_vgpr 1
		.amdhsa_next_free_sgpr 0
		.amdhsa_accum_offset 4
		.amdhsa_reserve_vcc 0
		.amdhsa_float_round_mode_32 0
		.amdhsa_float_round_mode_16_64 0
		.amdhsa_float_denorm_mode_32 3
		.amdhsa_float_denorm_mode_16_64 3
		.amdhsa_dx10_clamp 1
		.amdhsa_ieee_mode 1
		.amdhsa_fp16_overflow 0
		.amdhsa_tg_split 0
		.amdhsa_exception_fp_ieee_invalid_op 0
		.amdhsa_exception_fp_denorm_src 0
		.amdhsa_exception_fp_ieee_div_zero 0
		.amdhsa_exception_fp_ieee_overflow 0
		.amdhsa_exception_fp_ieee_underflow 0
		.amdhsa_exception_fp_ieee_inexact 0
		.amdhsa_exception_int_div_zero 0
	.end_amdhsa_kernel
	.section	.text._ZN7rocprim17ROCPRIM_400000_NS6detail17trampoline_kernelINS0_14default_configENS1_38merge_sort_block_merge_config_selectorIN6thrust23THRUST_200600_302600_NS5tupleIffNS6_9null_typeES8_S8_S8_S8_S8_S8_S8_EENS0_10empty_typeEEEZZNS1_27merge_sort_block_merge_implIS3_NS6_6detail15normal_iteratorINS6_10device_ptrIS9_EEEEPSA_mNS6_4lessIS9_EEEE10hipError_tT0_T1_T2_jT3_P12ihipStream_tbPNSt15iterator_traitsISM_E10value_typeEPNSS_ISN_E10value_typeEPSO_NS1_7vsmem_tEENKUlT_SM_SN_SO_E_clIPS9_SH_SI_SI_EESL_S11_SM_SN_SO_EUlS11_E0_NS1_11comp_targetILNS1_3genE4ELNS1_11target_archE910ELNS1_3gpuE8ELNS1_3repE0EEENS1_38merge_mergepath_config_static_selectorELNS0_4arch9wavefront6targetE1EEEvSN_,"axG",@progbits,_ZN7rocprim17ROCPRIM_400000_NS6detail17trampoline_kernelINS0_14default_configENS1_38merge_sort_block_merge_config_selectorIN6thrust23THRUST_200600_302600_NS5tupleIffNS6_9null_typeES8_S8_S8_S8_S8_S8_S8_EENS0_10empty_typeEEEZZNS1_27merge_sort_block_merge_implIS3_NS6_6detail15normal_iteratorINS6_10device_ptrIS9_EEEEPSA_mNS6_4lessIS9_EEEE10hipError_tT0_T1_T2_jT3_P12ihipStream_tbPNSt15iterator_traitsISM_E10value_typeEPNSS_ISN_E10value_typeEPSO_NS1_7vsmem_tEENKUlT_SM_SN_SO_E_clIPS9_SH_SI_SI_EESL_S11_SM_SN_SO_EUlS11_E0_NS1_11comp_targetILNS1_3genE4ELNS1_11target_archE910ELNS1_3gpuE8ELNS1_3repE0EEENS1_38merge_mergepath_config_static_selectorELNS0_4arch9wavefront6targetE1EEEvSN_,comdat
.Lfunc_end38:
	.size	_ZN7rocprim17ROCPRIM_400000_NS6detail17trampoline_kernelINS0_14default_configENS1_38merge_sort_block_merge_config_selectorIN6thrust23THRUST_200600_302600_NS5tupleIffNS6_9null_typeES8_S8_S8_S8_S8_S8_S8_EENS0_10empty_typeEEEZZNS1_27merge_sort_block_merge_implIS3_NS6_6detail15normal_iteratorINS6_10device_ptrIS9_EEEEPSA_mNS6_4lessIS9_EEEE10hipError_tT0_T1_T2_jT3_P12ihipStream_tbPNSt15iterator_traitsISM_E10value_typeEPNSS_ISN_E10value_typeEPSO_NS1_7vsmem_tEENKUlT_SM_SN_SO_E_clIPS9_SH_SI_SI_EESL_S11_SM_SN_SO_EUlS11_E0_NS1_11comp_targetILNS1_3genE4ELNS1_11target_archE910ELNS1_3gpuE8ELNS1_3repE0EEENS1_38merge_mergepath_config_static_selectorELNS0_4arch9wavefront6targetE1EEEvSN_, .Lfunc_end38-_ZN7rocprim17ROCPRIM_400000_NS6detail17trampoline_kernelINS0_14default_configENS1_38merge_sort_block_merge_config_selectorIN6thrust23THRUST_200600_302600_NS5tupleIffNS6_9null_typeES8_S8_S8_S8_S8_S8_S8_EENS0_10empty_typeEEEZZNS1_27merge_sort_block_merge_implIS3_NS6_6detail15normal_iteratorINS6_10device_ptrIS9_EEEEPSA_mNS6_4lessIS9_EEEE10hipError_tT0_T1_T2_jT3_P12ihipStream_tbPNSt15iterator_traitsISM_E10value_typeEPNSS_ISN_E10value_typeEPSO_NS1_7vsmem_tEENKUlT_SM_SN_SO_E_clIPS9_SH_SI_SI_EESL_S11_SM_SN_SO_EUlS11_E0_NS1_11comp_targetILNS1_3genE4ELNS1_11target_archE910ELNS1_3gpuE8ELNS1_3repE0EEENS1_38merge_mergepath_config_static_selectorELNS0_4arch9wavefront6targetE1EEEvSN_
                                        ; -- End function
	.section	.AMDGPU.csdata,"",@progbits
; Kernel info:
; codeLenInByte = 0
; NumSgprs: 6
; NumVgprs: 0
; NumAgprs: 0
; TotalNumVgprs: 0
; ScratchSize: 0
; MemoryBound: 0
; FloatMode: 240
; IeeeMode: 1
; LDSByteSize: 0 bytes/workgroup (compile time only)
; SGPRBlocks: 0
; VGPRBlocks: 0
; NumSGPRsForWavesPerEU: 6
; NumVGPRsForWavesPerEU: 1
; AccumOffset: 4
; Occupancy: 8
; WaveLimiterHint : 0
; COMPUTE_PGM_RSRC2:SCRATCH_EN: 0
; COMPUTE_PGM_RSRC2:USER_SGPR: 2
; COMPUTE_PGM_RSRC2:TRAP_HANDLER: 0
; COMPUTE_PGM_RSRC2:TGID_X_EN: 1
; COMPUTE_PGM_RSRC2:TGID_Y_EN: 0
; COMPUTE_PGM_RSRC2:TGID_Z_EN: 0
; COMPUTE_PGM_RSRC2:TIDIG_COMP_CNT: 0
; COMPUTE_PGM_RSRC3_GFX90A:ACCUM_OFFSET: 0
; COMPUTE_PGM_RSRC3_GFX90A:TG_SPLIT: 0
	.section	.text._ZN7rocprim17ROCPRIM_400000_NS6detail17trampoline_kernelINS0_14default_configENS1_38merge_sort_block_merge_config_selectorIN6thrust23THRUST_200600_302600_NS5tupleIffNS6_9null_typeES8_S8_S8_S8_S8_S8_S8_EENS0_10empty_typeEEEZZNS1_27merge_sort_block_merge_implIS3_NS6_6detail15normal_iteratorINS6_10device_ptrIS9_EEEEPSA_mNS6_4lessIS9_EEEE10hipError_tT0_T1_T2_jT3_P12ihipStream_tbPNSt15iterator_traitsISM_E10value_typeEPNSS_ISN_E10value_typeEPSO_NS1_7vsmem_tEENKUlT_SM_SN_SO_E_clIPS9_SH_SI_SI_EESL_S11_SM_SN_SO_EUlS11_E0_NS1_11comp_targetILNS1_3genE3ELNS1_11target_archE908ELNS1_3gpuE7ELNS1_3repE0EEENS1_38merge_mergepath_config_static_selectorELNS0_4arch9wavefront6targetE1EEEvSN_,"axG",@progbits,_ZN7rocprim17ROCPRIM_400000_NS6detail17trampoline_kernelINS0_14default_configENS1_38merge_sort_block_merge_config_selectorIN6thrust23THRUST_200600_302600_NS5tupleIffNS6_9null_typeES8_S8_S8_S8_S8_S8_S8_EENS0_10empty_typeEEEZZNS1_27merge_sort_block_merge_implIS3_NS6_6detail15normal_iteratorINS6_10device_ptrIS9_EEEEPSA_mNS6_4lessIS9_EEEE10hipError_tT0_T1_T2_jT3_P12ihipStream_tbPNSt15iterator_traitsISM_E10value_typeEPNSS_ISN_E10value_typeEPSO_NS1_7vsmem_tEENKUlT_SM_SN_SO_E_clIPS9_SH_SI_SI_EESL_S11_SM_SN_SO_EUlS11_E0_NS1_11comp_targetILNS1_3genE3ELNS1_11target_archE908ELNS1_3gpuE7ELNS1_3repE0EEENS1_38merge_mergepath_config_static_selectorELNS0_4arch9wavefront6targetE1EEEvSN_,comdat
	.protected	_ZN7rocprim17ROCPRIM_400000_NS6detail17trampoline_kernelINS0_14default_configENS1_38merge_sort_block_merge_config_selectorIN6thrust23THRUST_200600_302600_NS5tupleIffNS6_9null_typeES8_S8_S8_S8_S8_S8_S8_EENS0_10empty_typeEEEZZNS1_27merge_sort_block_merge_implIS3_NS6_6detail15normal_iteratorINS6_10device_ptrIS9_EEEEPSA_mNS6_4lessIS9_EEEE10hipError_tT0_T1_T2_jT3_P12ihipStream_tbPNSt15iterator_traitsISM_E10value_typeEPNSS_ISN_E10value_typeEPSO_NS1_7vsmem_tEENKUlT_SM_SN_SO_E_clIPS9_SH_SI_SI_EESL_S11_SM_SN_SO_EUlS11_E0_NS1_11comp_targetILNS1_3genE3ELNS1_11target_archE908ELNS1_3gpuE7ELNS1_3repE0EEENS1_38merge_mergepath_config_static_selectorELNS0_4arch9wavefront6targetE1EEEvSN_ ; -- Begin function _ZN7rocprim17ROCPRIM_400000_NS6detail17trampoline_kernelINS0_14default_configENS1_38merge_sort_block_merge_config_selectorIN6thrust23THRUST_200600_302600_NS5tupleIffNS6_9null_typeES8_S8_S8_S8_S8_S8_S8_EENS0_10empty_typeEEEZZNS1_27merge_sort_block_merge_implIS3_NS6_6detail15normal_iteratorINS6_10device_ptrIS9_EEEEPSA_mNS6_4lessIS9_EEEE10hipError_tT0_T1_T2_jT3_P12ihipStream_tbPNSt15iterator_traitsISM_E10value_typeEPNSS_ISN_E10value_typeEPSO_NS1_7vsmem_tEENKUlT_SM_SN_SO_E_clIPS9_SH_SI_SI_EESL_S11_SM_SN_SO_EUlS11_E0_NS1_11comp_targetILNS1_3genE3ELNS1_11target_archE908ELNS1_3gpuE7ELNS1_3repE0EEENS1_38merge_mergepath_config_static_selectorELNS0_4arch9wavefront6targetE1EEEvSN_
	.globl	_ZN7rocprim17ROCPRIM_400000_NS6detail17trampoline_kernelINS0_14default_configENS1_38merge_sort_block_merge_config_selectorIN6thrust23THRUST_200600_302600_NS5tupleIffNS6_9null_typeES8_S8_S8_S8_S8_S8_S8_EENS0_10empty_typeEEEZZNS1_27merge_sort_block_merge_implIS3_NS6_6detail15normal_iteratorINS6_10device_ptrIS9_EEEEPSA_mNS6_4lessIS9_EEEE10hipError_tT0_T1_T2_jT3_P12ihipStream_tbPNSt15iterator_traitsISM_E10value_typeEPNSS_ISN_E10value_typeEPSO_NS1_7vsmem_tEENKUlT_SM_SN_SO_E_clIPS9_SH_SI_SI_EESL_S11_SM_SN_SO_EUlS11_E0_NS1_11comp_targetILNS1_3genE3ELNS1_11target_archE908ELNS1_3gpuE7ELNS1_3repE0EEENS1_38merge_mergepath_config_static_selectorELNS0_4arch9wavefront6targetE1EEEvSN_
	.p2align	8
	.type	_ZN7rocprim17ROCPRIM_400000_NS6detail17trampoline_kernelINS0_14default_configENS1_38merge_sort_block_merge_config_selectorIN6thrust23THRUST_200600_302600_NS5tupleIffNS6_9null_typeES8_S8_S8_S8_S8_S8_S8_EENS0_10empty_typeEEEZZNS1_27merge_sort_block_merge_implIS3_NS6_6detail15normal_iteratorINS6_10device_ptrIS9_EEEEPSA_mNS6_4lessIS9_EEEE10hipError_tT0_T1_T2_jT3_P12ihipStream_tbPNSt15iterator_traitsISM_E10value_typeEPNSS_ISN_E10value_typeEPSO_NS1_7vsmem_tEENKUlT_SM_SN_SO_E_clIPS9_SH_SI_SI_EESL_S11_SM_SN_SO_EUlS11_E0_NS1_11comp_targetILNS1_3genE3ELNS1_11target_archE908ELNS1_3gpuE7ELNS1_3repE0EEENS1_38merge_mergepath_config_static_selectorELNS0_4arch9wavefront6targetE1EEEvSN_,@function
_ZN7rocprim17ROCPRIM_400000_NS6detail17trampoline_kernelINS0_14default_configENS1_38merge_sort_block_merge_config_selectorIN6thrust23THRUST_200600_302600_NS5tupleIffNS6_9null_typeES8_S8_S8_S8_S8_S8_S8_EENS0_10empty_typeEEEZZNS1_27merge_sort_block_merge_implIS3_NS6_6detail15normal_iteratorINS6_10device_ptrIS9_EEEEPSA_mNS6_4lessIS9_EEEE10hipError_tT0_T1_T2_jT3_P12ihipStream_tbPNSt15iterator_traitsISM_E10value_typeEPNSS_ISN_E10value_typeEPSO_NS1_7vsmem_tEENKUlT_SM_SN_SO_E_clIPS9_SH_SI_SI_EESL_S11_SM_SN_SO_EUlS11_E0_NS1_11comp_targetILNS1_3genE3ELNS1_11target_archE908ELNS1_3gpuE7ELNS1_3repE0EEENS1_38merge_mergepath_config_static_selectorELNS0_4arch9wavefront6targetE1EEEvSN_: ; @_ZN7rocprim17ROCPRIM_400000_NS6detail17trampoline_kernelINS0_14default_configENS1_38merge_sort_block_merge_config_selectorIN6thrust23THRUST_200600_302600_NS5tupleIffNS6_9null_typeES8_S8_S8_S8_S8_S8_S8_EENS0_10empty_typeEEEZZNS1_27merge_sort_block_merge_implIS3_NS6_6detail15normal_iteratorINS6_10device_ptrIS9_EEEEPSA_mNS6_4lessIS9_EEEE10hipError_tT0_T1_T2_jT3_P12ihipStream_tbPNSt15iterator_traitsISM_E10value_typeEPNSS_ISN_E10value_typeEPSO_NS1_7vsmem_tEENKUlT_SM_SN_SO_E_clIPS9_SH_SI_SI_EESL_S11_SM_SN_SO_EUlS11_E0_NS1_11comp_targetILNS1_3genE3ELNS1_11target_archE908ELNS1_3gpuE7ELNS1_3repE0EEENS1_38merge_mergepath_config_static_selectorELNS0_4arch9wavefront6targetE1EEEvSN_
; %bb.0:
	.section	.rodata,"a",@progbits
	.p2align	6, 0x0
	.amdhsa_kernel _ZN7rocprim17ROCPRIM_400000_NS6detail17trampoline_kernelINS0_14default_configENS1_38merge_sort_block_merge_config_selectorIN6thrust23THRUST_200600_302600_NS5tupleIffNS6_9null_typeES8_S8_S8_S8_S8_S8_S8_EENS0_10empty_typeEEEZZNS1_27merge_sort_block_merge_implIS3_NS6_6detail15normal_iteratorINS6_10device_ptrIS9_EEEEPSA_mNS6_4lessIS9_EEEE10hipError_tT0_T1_T2_jT3_P12ihipStream_tbPNSt15iterator_traitsISM_E10value_typeEPNSS_ISN_E10value_typeEPSO_NS1_7vsmem_tEENKUlT_SM_SN_SO_E_clIPS9_SH_SI_SI_EESL_S11_SM_SN_SO_EUlS11_E0_NS1_11comp_targetILNS1_3genE3ELNS1_11target_archE908ELNS1_3gpuE7ELNS1_3repE0EEENS1_38merge_mergepath_config_static_selectorELNS0_4arch9wavefront6targetE1EEEvSN_
		.amdhsa_group_segment_fixed_size 0
		.amdhsa_private_segment_fixed_size 0
		.amdhsa_kernarg_size 72
		.amdhsa_user_sgpr_count 2
		.amdhsa_user_sgpr_dispatch_ptr 0
		.amdhsa_user_sgpr_queue_ptr 0
		.amdhsa_user_sgpr_kernarg_segment_ptr 1
		.amdhsa_user_sgpr_dispatch_id 0
		.amdhsa_user_sgpr_kernarg_preload_length 0
		.amdhsa_user_sgpr_kernarg_preload_offset 0
		.amdhsa_user_sgpr_private_segment_size 0
		.amdhsa_uses_dynamic_stack 0
		.amdhsa_enable_private_segment 0
		.amdhsa_system_sgpr_workgroup_id_x 1
		.amdhsa_system_sgpr_workgroup_id_y 0
		.amdhsa_system_sgpr_workgroup_id_z 0
		.amdhsa_system_sgpr_workgroup_info 0
		.amdhsa_system_vgpr_workitem_id 0
		.amdhsa_next_free_vgpr 1
		.amdhsa_next_free_sgpr 0
		.amdhsa_accum_offset 4
		.amdhsa_reserve_vcc 0
		.amdhsa_float_round_mode_32 0
		.amdhsa_float_round_mode_16_64 0
		.amdhsa_float_denorm_mode_32 3
		.amdhsa_float_denorm_mode_16_64 3
		.amdhsa_dx10_clamp 1
		.amdhsa_ieee_mode 1
		.amdhsa_fp16_overflow 0
		.amdhsa_tg_split 0
		.amdhsa_exception_fp_ieee_invalid_op 0
		.amdhsa_exception_fp_denorm_src 0
		.amdhsa_exception_fp_ieee_div_zero 0
		.amdhsa_exception_fp_ieee_overflow 0
		.amdhsa_exception_fp_ieee_underflow 0
		.amdhsa_exception_fp_ieee_inexact 0
		.amdhsa_exception_int_div_zero 0
	.end_amdhsa_kernel
	.section	.text._ZN7rocprim17ROCPRIM_400000_NS6detail17trampoline_kernelINS0_14default_configENS1_38merge_sort_block_merge_config_selectorIN6thrust23THRUST_200600_302600_NS5tupleIffNS6_9null_typeES8_S8_S8_S8_S8_S8_S8_EENS0_10empty_typeEEEZZNS1_27merge_sort_block_merge_implIS3_NS6_6detail15normal_iteratorINS6_10device_ptrIS9_EEEEPSA_mNS6_4lessIS9_EEEE10hipError_tT0_T1_T2_jT3_P12ihipStream_tbPNSt15iterator_traitsISM_E10value_typeEPNSS_ISN_E10value_typeEPSO_NS1_7vsmem_tEENKUlT_SM_SN_SO_E_clIPS9_SH_SI_SI_EESL_S11_SM_SN_SO_EUlS11_E0_NS1_11comp_targetILNS1_3genE3ELNS1_11target_archE908ELNS1_3gpuE7ELNS1_3repE0EEENS1_38merge_mergepath_config_static_selectorELNS0_4arch9wavefront6targetE1EEEvSN_,"axG",@progbits,_ZN7rocprim17ROCPRIM_400000_NS6detail17trampoline_kernelINS0_14default_configENS1_38merge_sort_block_merge_config_selectorIN6thrust23THRUST_200600_302600_NS5tupleIffNS6_9null_typeES8_S8_S8_S8_S8_S8_S8_EENS0_10empty_typeEEEZZNS1_27merge_sort_block_merge_implIS3_NS6_6detail15normal_iteratorINS6_10device_ptrIS9_EEEEPSA_mNS6_4lessIS9_EEEE10hipError_tT0_T1_T2_jT3_P12ihipStream_tbPNSt15iterator_traitsISM_E10value_typeEPNSS_ISN_E10value_typeEPSO_NS1_7vsmem_tEENKUlT_SM_SN_SO_E_clIPS9_SH_SI_SI_EESL_S11_SM_SN_SO_EUlS11_E0_NS1_11comp_targetILNS1_3genE3ELNS1_11target_archE908ELNS1_3gpuE7ELNS1_3repE0EEENS1_38merge_mergepath_config_static_selectorELNS0_4arch9wavefront6targetE1EEEvSN_,comdat
.Lfunc_end39:
	.size	_ZN7rocprim17ROCPRIM_400000_NS6detail17trampoline_kernelINS0_14default_configENS1_38merge_sort_block_merge_config_selectorIN6thrust23THRUST_200600_302600_NS5tupleIffNS6_9null_typeES8_S8_S8_S8_S8_S8_S8_EENS0_10empty_typeEEEZZNS1_27merge_sort_block_merge_implIS3_NS6_6detail15normal_iteratorINS6_10device_ptrIS9_EEEEPSA_mNS6_4lessIS9_EEEE10hipError_tT0_T1_T2_jT3_P12ihipStream_tbPNSt15iterator_traitsISM_E10value_typeEPNSS_ISN_E10value_typeEPSO_NS1_7vsmem_tEENKUlT_SM_SN_SO_E_clIPS9_SH_SI_SI_EESL_S11_SM_SN_SO_EUlS11_E0_NS1_11comp_targetILNS1_3genE3ELNS1_11target_archE908ELNS1_3gpuE7ELNS1_3repE0EEENS1_38merge_mergepath_config_static_selectorELNS0_4arch9wavefront6targetE1EEEvSN_, .Lfunc_end39-_ZN7rocprim17ROCPRIM_400000_NS6detail17trampoline_kernelINS0_14default_configENS1_38merge_sort_block_merge_config_selectorIN6thrust23THRUST_200600_302600_NS5tupleIffNS6_9null_typeES8_S8_S8_S8_S8_S8_S8_EENS0_10empty_typeEEEZZNS1_27merge_sort_block_merge_implIS3_NS6_6detail15normal_iteratorINS6_10device_ptrIS9_EEEEPSA_mNS6_4lessIS9_EEEE10hipError_tT0_T1_T2_jT3_P12ihipStream_tbPNSt15iterator_traitsISM_E10value_typeEPNSS_ISN_E10value_typeEPSO_NS1_7vsmem_tEENKUlT_SM_SN_SO_E_clIPS9_SH_SI_SI_EESL_S11_SM_SN_SO_EUlS11_E0_NS1_11comp_targetILNS1_3genE3ELNS1_11target_archE908ELNS1_3gpuE7ELNS1_3repE0EEENS1_38merge_mergepath_config_static_selectorELNS0_4arch9wavefront6targetE1EEEvSN_
                                        ; -- End function
	.section	.AMDGPU.csdata,"",@progbits
; Kernel info:
; codeLenInByte = 0
; NumSgprs: 6
; NumVgprs: 0
; NumAgprs: 0
; TotalNumVgprs: 0
; ScratchSize: 0
; MemoryBound: 0
; FloatMode: 240
; IeeeMode: 1
; LDSByteSize: 0 bytes/workgroup (compile time only)
; SGPRBlocks: 0
; VGPRBlocks: 0
; NumSGPRsForWavesPerEU: 6
; NumVGPRsForWavesPerEU: 1
; AccumOffset: 4
; Occupancy: 8
; WaveLimiterHint : 0
; COMPUTE_PGM_RSRC2:SCRATCH_EN: 0
; COMPUTE_PGM_RSRC2:USER_SGPR: 2
; COMPUTE_PGM_RSRC2:TRAP_HANDLER: 0
; COMPUTE_PGM_RSRC2:TGID_X_EN: 1
; COMPUTE_PGM_RSRC2:TGID_Y_EN: 0
; COMPUTE_PGM_RSRC2:TGID_Z_EN: 0
; COMPUTE_PGM_RSRC2:TIDIG_COMP_CNT: 0
; COMPUTE_PGM_RSRC3_GFX90A:ACCUM_OFFSET: 0
; COMPUTE_PGM_RSRC3_GFX90A:TG_SPLIT: 0
	.section	.text._ZN7rocprim17ROCPRIM_400000_NS6detail17trampoline_kernelINS0_14default_configENS1_38merge_sort_block_merge_config_selectorIN6thrust23THRUST_200600_302600_NS5tupleIffNS6_9null_typeES8_S8_S8_S8_S8_S8_S8_EENS0_10empty_typeEEEZZNS1_27merge_sort_block_merge_implIS3_NS6_6detail15normal_iteratorINS6_10device_ptrIS9_EEEEPSA_mNS6_4lessIS9_EEEE10hipError_tT0_T1_T2_jT3_P12ihipStream_tbPNSt15iterator_traitsISM_E10value_typeEPNSS_ISN_E10value_typeEPSO_NS1_7vsmem_tEENKUlT_SM_SN_SO_E_clIPS9_SH_SI_SI_EESL_S11_SM_SN_SO_EUlS11_E0_NS1_11comp_targetILNS1_3genE2ELNS1_11target_archE906ELNS1_3gpuE6ELNS1_3repE0EEENS1_38merge_mergepath_config_static_selectorELNS0_4arch9wavefront6targetE1EEEvSN_,"axG",@progbits,_ZN7rocprim17ROCPRIM_400000_NS6detail17trampoline_kernelINS0_14default_configENS1_38merge_sort_block_merge_config_selectorIN6thrust23THRUST_200600_302600_NS5tupleIffNS6_9null_typeES8_S8_S8_S8_S8_S8_S8_EENS0_10empty_typeEEEZZNS1_27merge_sort_block_merge_implIS3_NS6_6detail15normal_iteratorINS6_10device_ptrIS9_EEEEPSA_mNS6_4lessIS9_EEEE10hipError_tT0_T1_T2_jT3_P12ihipStream_tbPNSt15iterator_traitsISM_E10value_typeEPNSS_ISN_E10value_typeEPSO_NS1_7vsmem_tEENKUlT_SM_SN_SO_E_clIPS9_SH_SI_SI_EESL_S11_SM_SN_SO_EUlS11_E0_NS1_11comp_targetILNS1_3genE2ELNS1_11target_archE906ELNS1_3gpuE6ELNS1_3repE0EEENS1_38merge_mergepath_config_static_selectorELNS0_4arch9wavefront6targetE1EEEvSN_,comdat
	.protected	_ZN7rocprim17ROCPRIM_400000_NS6detail17trampoline_kernelINS0_14default_configENS1_38merge_sort_block_merge_config_selectorIN6thrust23THRUST_200600_302600_NS5tupleIffNS6_9null_typeES8_S8_S8_S8_S8_S8_S8_EENS0_10empty_typeEEEZZNS1_27merge_sort_block_merge_implIS3_NS6_6detail15normal_iteratorINS6_10device_ptrIS9_EEEEPSA_mNS6_4lessIS9_EEEE10hipError_tT0_T1_T2_jT3_P12ihipStream_tbPNSt15iterator_traitsISM_E10value_typeEPNSS_ISN_E10value_typeEPSO_NS1_7vsmem_tEENKUlT_SM_SN_SO_E_clIPS9_SH_SI_SI_EESL_S11_SM_SN_SO_EUlS11_E0_NS1_11comp_targetILNS1_3genE2ELNS1_11target_archE906ELNS1_3gpuE6ELNS1_3repE0EEENS1_38merge_mergepath_config_static_selectorELNS0_4arch9wavefront6targetE1EEEvSN_ ; -- Begin function _ZN7rocprim17ROCPRIM_400000_NS6detail17trampoline_kernelINS0_14default_configENS1_38merge_sort_block_merge_config_selectorIN6thrust23THRUST_200600_302600_NS5tupleIffNS6_9null_typeES8_S8_S8_S8_S8_S8_S8_EENS0_10empty_typeEEEZZNS1_27merge_sort_block_merge_implIS3_NS6_6detail15normal_iteratorINS6_10device_ptrIS9_EEEEPSA_mNS6_4lessIS9_EEEE10hipError_tT0_T1_T2_jT3_P12ihipStream_tbPNSt15iterator_traitsISM_E10value_typeEPNSS_ISN_E10value_typeEPSO_NS1_7vsmem_tEENKUlT_SM_SN_SO_E_clIPS9_SH_SI_SI_EESL_S11_SM_SN_SO_EUlS11_E0_NS1_11comp_targetILNS1_3genE2ELNS1_11target_archE906ELNS1_3gpuE6ELNS1_3repE0EEENS1_38merge_mergepath_config_static_selectorELNS0_4arch9wavefront6targetE1EEEvSN_
	.globl	_ZN7rocprim17ROCPRIM_400000_NS6detail17trampoline_kernelINS0_14default_configENS1_38merge_sort_block_merge_config_selectorIN6thrust23THRUST_200600_302600_NS5tupleIffNS6_9null_typeES8_S8_S8_S8_S8_S8_S8_EENS0_10empty_typeEEEZZNS1_27merge_sort_block_merge_implIS3_NS6_6detail15normal_iteratorINS6_10device_ptrIS9_EEEEPSA_mNS6_4lessIS9_EEEE10hipError_tT0_T1_T2_jT3_P12ihipStream_tbPNSt15iterator_traitsISM_E10value_typeEPNSS_ISN_E10value_typeEPSO_NS1_7vsmem_tEENKUlT_SM_SN_SO_E_clIPS9_SH_SI_SI_EESL_S11_SM_SN_SO_EUlS11_E0_NS1_11comp_targetILNS1_3genE2ELNS1_11target_archE906ELNS1_3gpuE6ELNS1_3repE0EEENS1_38merge_mergepath_config_static_selectorELNS0_4arch9wavefront6targetE1EEEvSN_
	.p2align	8
	.type	_ZN7rocprim17ROCPRIM_400000_NS6detail17trampoline_kernelINS0_14default_configENS1_38merge_sort_block_merge_config_selectorIN6thrust23THRUST_200600_302600_NS5tupleIffNS6_9null_typeES8_S8_S8_S8_S8_S8_S8_EENS0_10empty_typeEEEZZNS1_27merge_sort_block_merge_implIS3_NS6_6detail15normal_iteratorINS6_10device_ptrIS9_EEEEPSA_mNS6_4lessIS9_EEEE10hipError_tT0_T1_T2_jT3_P12ihipStream_tbPNSt15iterator_traitsISM_E10value_typeEPNSS_ISN_E10value_typeEPSO_NS1_7vsmem_tEENKUlT_SM_SN_SO_E_clIPS9_SH_SI_SI_EESL_S11_SM_SN_SO_EUlS11_E0_NS1_11comp_targetILNS1_3genE2ELNS1_11target_archE906ELNS1_3gpuE6ELNS1_3repE0EEENS1_38merge_mergepath_config_static_selectorELNS0_4arch9wavefront6targetE1EEEvSN_,@function
_ZN7rocprim17ROCPRIM_400000_NS6detail17trampoline_kernelINS0_14default_configENS1_38merge_sort_block_merge_config_selectorIN6thrust23THRUST_200600_302600_NS5tupleIffNS6_9null_typeES8_S8_S8_S8_S8_S8_S8_EENS0_10empty_typeEEEZZNS1_27merge_sort_block_merge_implIS3_NS6_6detail15normal_iteratorINS6_10device_ptrIS9_EEEEPSA_mNS6_4lessIS9_EEEE10hipError_tT0_T1_T2_jT3_P12ihipStream_tbPNSt15iterator_traitsISM_E10value_typeEPNSS_ISN_E10value_typeEPSO_NS1_7vsmem_tEENKUlT_SM_SN_SO_E_clIPS9_SH_SI_SI_EESL_S11_SM_SN_SO_EUlS11_E0_NS1_11comp_targetILNS1_3genE2ELNS1_11target_archE906ELNS1_3gpuE6ELNS1_3repE0EEENS1_38merge_mergepath_config_static_selectorELNS0_4arch9wavefront6targetE1EEEvSN_: ; @_ZN7rocprim17ROCPRIM_400000_NS6detail17trampoline_kernelINS0_14default_configENS1_38merge_sort_block_merge_config_selectorIN6thrust23THRUST_200600_302600_NS5tupleIffNS6_9null_typeES8_S8_S8_S8_S8_S8_S8_EENS0_10empty_typeEEEZZNS1_27merge_sort_block_merge_implIS3_NS6_6detail15normal_iteratorINS6_10device_ptrIS9_EEEEPSA_mNS6_4lessIS9_EEEE10hipError_tT0_T1_T2_jT3_P12ihipStream_tbPNSt15iterator_traitsISM_E10value_typeEPNSS_ISN_E10value_typeEPSO_NS1_7vsmem_tEENKUlT_SM_SN_SO_E_clIPS9_SH_SI_SI_EESL_S11_SM_SN_SO_EUlS11_E0_NS1_11comp_targetILNS1_3genE2ELNS1_11target_archE906ELNS1_3gpuE6ELNS1_3repE0EEENS1_38merge_mergepath_config_static_selectorELNS0_4arch9wavefront6targetE1EEEvSN_
; %bb.0:
	.section	.rodata,"a",@progbits
	.p2align	6, 0x0
	.amdhsa_kernel _ZN7rocprim17ROCPRIM_400000_NS6detail17trampoline_kernelINS0_14default_configENS1_38merge_sort_block_merge_config_selectorIN6thrust23THRUST_200600_302600_NS5tupleIffNS6_9null_typeES8_S8_S8_S8_S8_S8_S8_EENS0_10empty_typeEEEZZNS1_27merge_sort_block_merge_implIS3_NS6_6detail15normal_iteratorINS6_10device_ptrIS9_EEEEPSA_mNS6_4lessIS9_EEEE10hipError_tT0_T1_T2_jT3_P12ihipStream_tbPNSt15iterator_traitsISM_E10value_typeEPNSS_ISN_E10value_typeEPSO_NS1_7vsmem_tEENKUlT_SM_SN_SO_E_clIPS9_SH_SI_SI_EESL_S11_SM_SN_SO_EUlS11_E0_NS1_11comp_targetILNS1_3genE2ELNS1_11target_archE906ELNS1_3gpuE6ELNS1_3repE0EEENS1_38merge_mergepath_config_static_selectorELNS0_4arch9wavefront6targetE1EEEvSN_
		.amdhsa_group_segment_fixed_size 0
		.amdhsa_private_segment_fixed_size 0
		.amdhsa_kernarg_size 72
		.amdhsa_user_sgpr_count 2
		.amdhsa_user_sgpr_dispatch_ptr 0
		.amdhsa_user_sgpr_queue_ptr 0
		.amdhsa_user_sgpr_kernarg_segment_ptr 1
		.amdhsa_user_sgpr_dispatch_id 0
		.amdhsa_user_sgpr_kernarg_preload_length 0
		.amdhsa_user_sgpr_kernarg_preload_offset 0
		.amdhsa_user_sgpr_private_segment_size 0
		.amdhsa_uses_dynamic_stack 0
		.amdhsa_enable_private_segment 0
		.amdhsa_system_sgpr_workgroup_id_x 1
		.amdhsa_system_sgpr_workgroup_id_y 0
		.amdhsa_system_sgpr_workgroup_id_z 0
		.amdhsa_system_sgpr_workgroup_info 0
		.amdhsa_system_vgpr_workitem_id 0
		.amdhsa_next_free_vgpr 1
		.amdhsa_next_free_sgpr 0
		.amdhsa_accum_offset 4
		.amdhsa_reserve_vcc 0
		.amdhsa_float_round_mode_32 0
		.amdhsa_float_round_mode_16_64 0
		.amdhsa_float_denorm_mode_32 3
		.amdhsa_float_denorm_mode_16_64 3
		.amdhsa_dx10_clamp 1
		.amdhsa_ieee_mode 1
		.amdhsa_fp16_overflow 0
		.amdhsa_tg_split 0
		.amdhsa_exception_fp_ieee_invalid_op 0
		.amdhsa_exception_fp_denorm_src 0
		.amdhsa_exception_fp_ieee_div_zero 0
		.amdhsa_exception_fp_ieee_overflow 0
		.amdhsa_exception_fp_ieee_underflow 0
		.amdhsa_exception_fp_ieee_inexact 0
		.amdhsa_exception_int_div_zero 0
	.end_amdhsa_kernel
	.section	.text._ZN7rocprim17ROCPRIM_400000_NS6detail17trampoline_kernelINS0_14default_configENS1_38merge_sort_block_merge_config_selectorIN6thrust23THRUST_200600_302600_NS5tupleIffNS6_9null_typeES8_S8_S8_S8_S8_S8_S8_EENS0_10empty_typeEEEZZNS1_27merge_sort_block_merge_implIS3_NS6_6detail15normal_iteratorINS6_10device_ptrIS9_EEEEPSA_mNS6_4lessIS9_EEEE10hipError_tT0_T1_T2_jT3_P12ihipStream_tbPNSt15iterator_traitsISM_E10value_typeEPNSS_ISN_E10value_typeEPSO_NS1_7vsmem_tEENKUlT_SM_SN_SO_E_clIPS9_SH_SI_SI_EESL_S11_SM_SN_SO_EUlS11_E0_NS1_11comp_targetILNS1_3genE2ELNS1_11target_archE906ELNS1_3gpuE6ELNS1_3repE0EEENS1_38merge_mergepath_config_static_selectorELNS0_4arch9wavefront6targetE1EEEvSN_,"axG",@progbits,_ZN7rocprim17ROCPRIM_400000_NS6detail17trampoline_kernelINS0_14default_configENS1_38merge_sort_block_merge_config_selectorIN6thrust23THRUST_200600_302600_NS5tupleIffNS6_9null_typeES8_S8_S8_S8_S8_S8_S8_EENS0_10empty_typeEEEZZNS1_27merge_sort_block_merge_implIS3_NS6_6detail15normal_iteratorINS6_10device_ptrIS9_EEEEPSA_mNS6_4lessIS9_EEEE10hipError_tT0_T1_T2_jT3_P12ihipStream_tbPNSt15iterator_traitsISM_E10value_typeEPNSS_ISN_E10value_typeEPSO_NS1_7vsmem_tEENKUlT_SM_SN_SO_E_clIPS9_SH_SI_SI_EESL_S11_SM_SN_SO_EUlS11_E0_NS1_11comp_targetILNS1_3genE2ELNS1_11target_archE906ELNS1_3gpuE6ELNS1_3repE0EEENS1_38merge_mergepath_config_static_selectorELNS0_4arch9wavefront6targetE1EEEvSN_,comdat
.Lfunc_end40:
	.size	_ZN7rocprim17ROCPRIM_400000_NS6detail17trampoline_kernelINS0_14default_configENS1_38merge_sort_block_merge_config_selectorIN6thrust23THRUST_200600_302600_NS5tupleIffNS6_9null_typeES8_S8_S8_S8_S8_S8_S8_EENS0_10empty_typeEEEZZNS1_27merge_sort_block_merge_implIS3_NS6_6detail15normal_iteratorINS6_10device_ptrIS9_EEEEPSA_mNS6_4lessIS9_EEEE10hipError_tT0_T1_T2_jT3_P12ihipStream_tbPNSt15iterator_traitsISM_E10value_typeEPNSS_ISN_E10value_typeEPSO_NS1_7vsmem_tEENKUlT_SM_SN_SO_E_clIPS9_SH_SI_SI_EESL_S11_SM_SN_SO_EUlS11_E0_NS1_11comp_targetILNS1_3genE2ELNS1_11target_archE906ELNS1_3gpuE6ELNS1_3repE0EEENS1_38merge_mergepath_config_static_selectorELNS0_4arch9wavefront6targetE1EEEvSN_, .Lfunc_end40-_ZN7rocprim17ROCPRIM_400000_NS6detail17trampoline_kernelINS0_14default_configENS1_38merge_sort_block_merge_config_selectorIN6thrust23THRUST_200600_302600_NS5tupleIffNS6_9null_typeES8_S8_S8_S8_S8_S8_S8_EENS0_10empty_typeEEEZZNS1_27merge_sort_block_merge_implIS3_NS6_6detail15normal_iteratorINS6_10device_ptrIS9_EEEEPSA_mNS6_4lessIS9_EEEE10hipError_tT0_T1_T2_jT3_P12ihipStream_tbPNSt15iterator_traitsISM_E10value_typeEPNSS_ISN_E10value_typeEPSO_NS1_7vsmem_tEENKUlT_SM_SN_SO_E_clIPS9_SH_SI_SI_EESL_S11_SM_SN_SO_EUlS11_E0_NS1_11comp_targetILNS1_3genE2ELNS1_11target_archE906ELNS1_3gpuE6ELNS1_3repE0EEENS1_38merge_mergepath_config_static_selectorELNS0_4arch9wavefront6targetE1EEEvSN_
                                        ; -- End function
	.section	.AMDGPU.csdata,"",@progbits
; Kernel info:
; codeLenInByte = 0
; NumSgprs: 6
; NumVgprs: 0
; NumAgprs: 0
; TotalNumVgprs: 0
; ScratchSize: 0
; MemoryBound: 0
; FloatMode: 240
; IeeeMode: 1
; LDSByteSize: 0 bytes/workgroup (compile time only)
; SGPRBlocks: 0
; VGPRBlocks: 0
; NumSGPRsForWavesPerEU: 6
; NumVGPRsForWavesPerEU: 1
; AccumOffset: 4
; Occupancy: 8
; WaveLimiterHint : 0
; COMPUTE_PGM_RSRC2:SCRATCH_EN: 0
; COMPUTE_PGM_RSRC2:USER_SGPR: 2
; COMPUTE_PGM_RSRC2:TRAP_HANDLER: 0
; COMPUTE_PGM_RSRC2:TGID_X_EN: 1
; COMPUTE_PGM_RSRC2:TGID_Y_EN: 0
; COMPUTE_PGM_RSRC2:TGID_Z_EN: 0
; COMPUTE_PGM_RSRC2:TIDIG_COMP_CNT: 0
; COMPUTE_PGM_RSRC3_GFX90A:ACCUM_OFFSET: 0
; COMPUTE_PGM_RSRC3_GFX90A:TG_SPLIT: 0
	.section	.text._ZN7rocprim17ROCPRIM_400000_NS6detail17trampoline_kernelINS0_14default_configENS1_38merge_sort_block_merge_config_selectorIN6thrust23THRUST_200600_302600_NS5tupleIffNS6_9null_typeES8_S8_S8_S8_S8_S8_S8_EENS0_10empty_typeEEEZZNS1_27merge_sort_block_merge_implIS3_NS6_6detail15normal_iteratorINS6_10device_ptrIS9_EEEEPSA_mNS6_4lessIS9_EEEE10hipError_tT0_T1_T2_jT3_P12ihipStream_tbPNSt15iterator_traitsISM_E10value_typeEPNSS_ISN_E10value_typeEPSO_NS1_7vsmem_tEENKUlT_SM_SN_SO_E_clIPS9_SH_SI_SI_EESL_S11_SM_SN_SO_EUlS11_E0_NS1_11comp_targetILNS1_3genE9ELNS1_11target_archE1100ELNS1_3gpuE3ELNS1_3repE0EEENS1_38merge_mergepath_config_static_selectorELNS0_4arch9wavefront6targetE1EEEvSN_,"axG",@progbits,_ZN7rocprim17ROCPRIM_400000_NS6detail17trampoline_kernelINS0_14default_configENS1_38merge_sort_block_merge_config_selectorIN6thrust23THRUST_200600_302600_NS5tupleIffNS6_9null_typeES8_S8_S8_S8_S8_S8_S8_EENS0_10empty_typeEEEZZNS1_27merge_sort_block_merge_implIS3_NS6_6detail15normal_iteratorINS6_10device_ptrIS9_EEEEPSA_mNS6_4lessIS9_EEEE10hipError_tT0_T1_T2_jT3_P12ihipStream_tbPNSt15iterator_traitsISM_E10value_typeEPNSS_ISN_E10value_typeEPSO_NS1_7vsmem_tEENKUlT_SM_SN_SO_E_clIPS9_SH_SI_SI_EESL_S11_SM_SN_SO_EUlS11_E0_NS1_11comp_targetILNS1_3genE9ELNS1_11target_archE1100ELNS1_3gpuE3ELNS1_3repE0EEENS1_38merge_mergepath_config_static_selectorELNS0_4arch9wavefront6targetE1EEEvSN_,comdat
	.protected	_ZN7rocprim17ROCPRIM_400000_NS6detail17trampoline_kernelINS0_14default_configENS1_38merge_sort_block_merge_config_selectorIN6thrust23THRUST_200600_302600_NS5tupleIffNS6_9null_typeES8_S8_S8_S8_S8_S8_S8_EENS0_10empty_typeEEEZZNS1_27merge_sort_block_merge_implIS3_NS6_6detail15normal_iteratorINS6_10device_ptrIS9_EEEEPSA_mNS6_4lessIS9_EEEE10hipError_tT0_T1_T2_jT3_P12ihipStream_tbPNSt15iterator_traitsISM_E10value_typeEPNSS_ISN_E10value_typeEPSO_NS1_7vsmem_tEENKUlT_SM_SN_SO_E_clIPS9_SH_SI_SI_EESL_S11_SM_SN_SO_EUlS11_E0_NS1_11comp_targetILNS1_3genE9ELNS1_11target_archE1100ELNS1_3gpuE3ELNS1_3repE0EEENS1_38merge_mergepath_config_static_selectorELNS0_4arch9wavefront6targetE1EEEvSN_ ; -- Begin function _ZN7rocprim17ROCPRIM_400000_NS6detail17trampoline_kernelINS0_14default_configENS1_38merge_sort_block_merge_config_selectorIN6thrust23THRUST_200600_302600_NS5tupleIffNS6_9null_typeES8_S8_S8_S8_S8_S8_S8_EENS0_10empty_typeEEEZZNS1_27merge_sort_block_merge_implIS3_NS6_6detail15normal_iteratorINS6_10device_ptrIS9_EEEEPSA_mNS6_4lessIS9_EEEE10hipError_tT0_T1_T2_jT3_P12ihipStream_tbPNSt15iterator_traitsISM_E10value_typeEPNSS_ISN_E10value_typeEPSO_NS1_7vsmem_tEENKUlT_SM_SN_SO_E_clIPS9_SH_SI_SI_EESL_S11_SM_SN_SO_EUlS11_E0_NS1_11comp_targetILNS1_3genE9ELNS1_11target_archE1100ELNS1_3gpuE3ELNS1_3repE0EEENS1_38merge_mergepath_config_static_selectorELNS0_4arch9wavefront6targetE1EEEvSN_
	.globl	_ZN7rocprim17ROCPRIM_400000_NS6detail17trampoline_kernelINS0_14default_configENS1_38merge_sort_block_merge_config_selectorIN6thrust23THRUST_200600_302600_NS5tupleIffNS6_9null_typeES8_S8_S8_S8_S8_S8_S8_EENS0_10empty_typeEEEZZNS1_27merge_sort_block_merge_implIS3_NS6_6detail15normal_iteratorINS6_10device_ptrIS9_EEEEPSA_mNS6_4lessIS9_EEEE10hipError_tT0_T1_T2_jT3_P12ihipStream_tbPNSt15iterator_traitsISM_E10value_typeEPNSS_ISN_E10value_typeEPSO_NS1_7vsmem_tEENKUlT_SM_SN_SO_E_clIPS9_SH_SI_SI_EESL_S11_SM_SN_SO_EUlS11_E0_NS1_11comp_targetILNS1_3genE9ELNS1_11target_archE1100ELNS1_3gpuE3ELNS1_3repE0EEENS1_38merge_mergepath_config_static_selectorELNS0_4arch9wavefront6targetE1EEEvSN_
	.p2align	8
	.type	_ZN7rocprim17ROCPRIM_400000_NS6detail17trampoline_kernelINS0_14default_configENS1_38merge_sort_block_merge_config_selectorIN6thrust23THRUST_200600_302600_NS5tupleIffNS6_9null_typeES8_S8_S8_S8_S8_S8_S8_EENS0_10empty_typeEEEZZNS1_27merge_sort_block_merge_implIS3_NS6_6detail15normal_iteratorINS6_10device_ptrIS9_EEEEPSA_mNS6_4lessIS9_EEEE10hipError_tT0_T1_T2_jT3_P12ihipStream_tbPNSt15iterator_traitsISM_E10value_typeEPNSS_ISN_E10value_typeEPSO_NS1_7vsmem_tEENKUlT_SM_SN_SO_E_clIPS9_SH_SI_SI_EESL_S11_SM_SN_SO_EUlS11_E0_NS1_11comp_targetILNS1_3genE9ELNS1_11target_archE1100ELNS1_3gpuE3ELNS1_3repE0EEENS1_38merge_mergepath_config_static_selectorELNS0_4arch9wavefront6targetE1EEEvSN_,@function
_ZN7rocprim17ROCPRIM_400000_NS6detail17trampoline_kernelINS0_14default_configENS1_38merge_sort_block_merge_config_selectorIN6thrust23THRUST_200600_302600_NS5tupleIffNS6_9null_typeES8_S8_S8_S8_S8_S8_S8_EENS0_10empty_typeEEEZZNS1_27merge_sort_block_merge_implIS3_NS6_6detail15normal_iteratorINS6_10device_ptrIS9_EEEEPSA_mNS6_4lessIS9_EEEE10hipError_tT0_T1_T2_jT3_P12ihipStream_tbPNSt15iterator_traitsISM_E10value_typeEPNSS_ISN_E10value_typeEPSO_NS1_7vsmem_tEENKUlT_SM_SN_SO_E_clIPS9_SH_SI_SI_EESL_S11_SM_SN_SO_EUlS11_E0_NS1_11comp_targetILNS1_3genE9ELNS1_11target_archE1100ELNS1_3gpuE3ELNS1_3repE0EEENS1_38merge_mergepath_config_static_selectorELNS0_4arch9wavefront6targetE1EEEvSN_: ; @_ZN7rocprim17ROCPRIM_400000_NS6detail17trampoline_kernelINS0_14default_configENS1_38merge_sort_block_merge_config_selectorIN6thrust23THRUST_200600_302600_NS5tupleIffNS6_9null_typeES8_S8_S8_S8_S8_S8_S8_EENS0_10empty_typeEEEZZNS1_27merge_sort_block_merge_implIS3_NS6_6detail15normal_iteratorINS6_10device_ptrIS9_EEEEPSA_mNS6_4lessIS9_EEEE10hipError_tT0_T1_T2_jT3_P12ihipStream_tbPNSt15iterator_traitsISM_E10value_typeEPNSS_ISN_E10value_typeEPSO_NS1_7vsmem_tEENKUlT_SM_SN_SO_E_clIPS9_SH_SI_SI_EESL_S11_SM_SN_SO_EUlS11_E0_NS1_11comp_targetILNS1_3genE9ELNS1_11target_archE1100ELNS1_3gpuE3ELNS1_3repE0EEENS1_38merge_mergepath_config_static_selectorELNS0_4arch9wavefront6targetE1EEEvSN_
; %bb.0:
	.section	.rodata,"a",@progbits
	.p2align	6, 0x0
	.amdhsa_kernel _ZN7rocprim17ROCPRIM_400000_NS6detail17trampoline_kernelINS0_14default_configENS1_38merge_sort_block_merge_config_selectorIN6thrust23THRUST_200600_302600_NS5tupleIffNS6_9null_typeES8_S8_S8_S8_S8_S8_S8_EENS0_10empty_typeEEEZZNS1_27merge_sort_block_merge_implIS3_NS6_6detail15normal_iteratorINS6_10device_ptrIS9_EEEEPSA_mNS6_4lessIS9_EEEE10hipError_tT0_T1_T2_jT3_P12ihipStream_tbPNSt15iterator_traitsISM_E10value_typeEPNSS_ISN_E10value_typeEPSO_NS1_7vsmem_tEENKUlT_SM_SN_SO_E_clIPS9_SH_SI_SI_EESL_S11_SM_SN_SO_EUlS11_E0_NS1_11comp_targetILNS1_3genE9ELNS1_11target_archE1100ELNS1_3gpuE3ELNS1_3repE0EEENS1_38merge_mergepath_config_static_selectorELNS0_4arch9wavefront6targetE1EEEvSN_
		.amdhsa_group_segment_fixed_size 0
		.amdhsa_private_segment_fixed_size 0
		.amdhsa_kernarg_size 72
		.amdhsa_user_sgpr_count 2
		.amdhsa_user_sgpr_dispatch_ptr 0
		.amdhsa_user_sgpr_queue_ptr 0
		.amdhsa_user_sgpr_kernarg_segment_ptr 1
		.amdhsa_user_sgpr_dispatch_id 0
		.amdhsa_user_sgpr_kernarg_preload_length 0
		.amdhsa_user_sgpr_kernarg_preload_offset 0
		.amdhsa_user_sgpr_private_segment_size 0
		.amdhsa_uses_dynamic_stack 0
		.amdhsa_enable_private_segment 0
		.amdhsa_system_sgpr_workgroup_id_x 1
		.amdhsa_system_sgpr_workgroup_id_y 0
		.amdhsa_system_sgpr_workgroup_id_z 0
		.amdhsa_system_sgpr_workgroup_info 0
		.amdhsa_system_vgpr_workitem_id 0
		.amdhsa_next_free_vgpr 1
		.amdhsa_next_free_sgpr 0
		.amdhsa_accum_offset 4
		.amdhsa_reserve_vcc 0
		.amdhsa_float_round_mode_32 0
		.amdhsa_float_round_mode_16_64 0
		.amdhsa_float_denorm_mode_32 3
		.amdhsa_float_denorm_mode_16_64 3
		.amdhsa_dx10_clamp 1
		.amdhsa_ieee_mode 1
		.amdhsa_fp16_overflow 0
		.amdhsa_tg_split 0
		.amdhsa_exception_fp_ieee_invalid_op 0
		.amdhsa_exception_fp_denorm_src 0
		.amdhsa_exception_fp_ieee_div_zero 0
		.amdhsa_exception_fp_ieee_overflow 0
		.amdhsa_exception_fp_ieee_underflow 0
		.amdhsa_exception_fp_ieee_inexact 0
		.amdhsa_exception_int_div_zero 0
	.end_amdhsa_kernel
	.section	.text._ZN7rocprim17ROCPRIM_400000_NS6detail17trampoline_kernelINS0_14default_configENS1_38merge_sort_block_merge_config_selectorIN6thrust23THRUST_200600_302600_NS5tupleIffNS6_9null_typeES8_S8_S8_S8_S8_S8_S8_EENS0_10empty_typeEEEZZNS1_27merge_sort_block_merge_implIS3_NS6_6detail15normal_iteratorINS6_10device_ptrIS9_EEEEPSA_mNS6_4lessIS9_EEEE10hipError_tT0_T1_T2_jT3_P12ihipStream_tbPNSt15iterator_traitsISM_E10value_typeEPNSS_ISN_E10value_typeEPSO_NS1_7vsmem_tEENKUlT_SM_SN_SO_E_clIPS9_SH_SI_SI_EESL_S11_SM_SN_SO_EUlS11_E0_NS1_11comp_targetILNS1_3genE9ELNS1_11target_archE1100ELNS1_3gpuE3ELNS1_3repE0EEENS1_38merge_mergepath_config_static_selectorELNS0_4arch9wavefront6targetE1EEEvSN_,"axG",@progbits,_ZN7rocprim17ROCPRIM_400000_NS6detail17trampoline_kernelINS0_14default_configENS1_38merge_sort_block_merge_config_selectorIN6thrust23THRUST_200600_302600_NS5tupleIffNS6_9null_typeES8_S8_S8_S8_S8_S8_S8_EENS0_10empty_typeEEEZZNS1_27merge_sort_block_merge_implIS3_NS6_6detail15normal_iteratorINS6_10device_ptrIS9_EEEEPSA_mNS6_4lessIS9_EEEE10hipError_tT0_T1_T2_jT3_P12ihipStream_tbPNSt15iterator_traitsISM_E10value_typeEPNSS_ISN_E10value_typeEPSO_NS1_7vsmem_tEENKUlT_SM_SN_SO_E_clIPS9_SH_SI_SI_EESL_S11_SM_SN_SO_EUlS11_E0_NS1_11comp_targetILNS1_3genE9ELNS1_11target_archE1100ELNS1_3gpuE3ELNS1_3repE0EEENS1_38merge_mergepath_config_static_selectorELNS0_4arch9wavefront6targetE1EEEvSN_,comdat
.Lfunc_end41:
	.size	_ZN7rocprim17ROCPRIM_400000_NS6detail17trampoline_kernelINS0_14default_configENS1_38merge_sort_block_merge_config_selectorIN6thrust23THRUST_200600_302600_NS5tupleIffNS6_9null_typeES8_S8_S8_S8_S8_S8_S8_EENS0_10empty_typeEEEZZNS1_27merge_sort_block_merge_implIS3_NS6_6detail15normal_iteratorINS6_10device_ptrIS9_EEEEPSA_mNS6_4lessIS9_EEEE10hipError_tT0_T1_T2_jT3_P12ihipStream_tbPNSt15iterator_traitsISM_E10value_typeEPNSS_ISN_E10value_typeEPSO_NS1_7vsmem_tEENKUlT_SM_SN_SO_E_clIPS9_SH_SI_SI_EESL_S11_SM_SN_SO_EUlS11_E0_NS1_11comp_targetILNS1_3genE9ELNS1_11target_archE1100ELNS1_3gpuE3ELNS1_3repE0EEENS1_38merge_mergepath_config_static_selectorELNS0_4arch9wavefront6targetE1EEEvSN_, .Lfunc_end41-_ZN7rocprim17ROCPRIM_400000_NS6detail17trampoline_kernelINS0_14default_configENS1_38merge_sort_block_merge_config_selectorIN6thrust23THRUST_200600_302600_NS5tupleIffNS6_9null_typeES8_S8_S8_S8_S8_S8_S8_EENS0_10empty_typeEEEZZNS1_27merge_sort_block_merge_implIS3_NS6_6detail15normal_iteratorINS6_10device_ptrIS9_EEEEPSA_mNS6_4lessIS9_EEEE10hipError_tT0_T1_T2_jT3_P12ihipStream_tbPNSt15iterator_traitsISM_E10value_typeEPNSS_ISN_E10value_typeEPSO_NS1_7vsmem_tEENKUlT_SM_SN_SO_E_clIPS9_SH_SI_SI_EESL_S11_SM_SN_SO_EUlS11_E0_NS1_11comp_targetILNS1_3genE9ELNS1_11target_archE1100ELNS1_3gpuE3ELNS1_3repE0EEENS1_38merge_mergepath_config_static_selectorELNS0_4arch9wavefront6targetE1EEEvSN_
                                        ; -- End function
	.section	.AMDGPU.csdata,"",@progbits
; Kernel info:
; codeLenInByte = 0
; NumSgprs: 6
; NumVgprs: 0
; NumAgprs: 0
; TotalNumVgprs: 0
; ScratchSize: 0
; MemoryBound: 0
; FloatMode: 240
; IeeeMode: 1
; LDSByteSize: 0 bytes/workgroup (compile time only)
; SGPRBlocks: 0
; VGPRBlocks: 0
; NumSGPRsForWavesPerEU: 6
; NumVGPRsForWavesPerEU: 1
; AccumOffset: 4
; Occupancy: 8
; WaveLimiterHint : 0
; COMPUTE_PGM_RSRC2:SCRATCH_EN: 0
; COMPUTE_PGM_RSRC2:USER_SGPR: 2
; COMPUTE_PGM_RSRC2:TRAP_HANDLER: 0
; COMPUTE_PGM_RSRC2:TGID_X_EN: 1
; COMPUTE_PGM_RSRC2:TGID_Y_EN: 0
; COMPUTE_PGM_RSRC2:TGID_Z_EN: 0
; COMPUTE_PGM_RSRC2:TIDIG_COMP_CNT: 0
; COMPUTE_PGM_RSRC3_GFX90A:ACCUM_OFFSET: 0
; COMPUTE_PGM_RSRC3_GFX90A:TG_SPLIT: 0
	.section	.text._ZN7rocprim17ROCPRIM_400000_NS6detail17trampoline_kernelINS0_14default_configENS1_38merge_sort_block_merge_config_selectorIN6thrust23THRUST_200600_302600_NS5tupleIffNS6_9null_typeES8_S8_S8_S8_S8_S8_S8_EENS0_10empty_typeEEEZZNS1_27merge_sort_block_merge_implIS3_NS6_6detail15normal_iteratorINS6_10device_ptrIS9_EEEEPSA_mNS6_4lessIS9_EEEE10hipError_tT0_T1_T2_jT3_P12ihipStream_tbPNSt15iterator_traitsISM_E10value_typeEPNSS_ISN_E10value_typeEPSO_NS1_7vsmem_tEENKUlT_SM_SN_SO_E_clIPS9_SH_SI_SI_EESL_S11_SM_SN_SO_EUlS11_E0_NS1_11comp_targetILNS1_3genE8ELNS1_11target_archE1030ELNS1_3gpuE2ELNS1_3repE0EEENS1_38merge_mergepath_config_static_selectorELNS0_4arch9wavefront6targetE1EEEvSN_,"axG",@progbits,_ZN7rocprim17ROCPRIM_400000_NS6detail17trampoline_kernelINS0_14default_configENS1_38merge_sort_block_merge_config_selectorIN6thrust23THRUST_200600_302600_NS5tupleIffNS6_9null_typeES8_S8_S8_S8_S8_S8_S8_EENS0_10empty_typeEEEZZNS1_27merge_sort_block_merge_implIS3_NS6_6detail15normal_iteratorINS6_10device_ptrIS9_EEEEPSA_mNS6_4lessIS9_EEEE10hipError_tT0_T1_T2_jT3_P12ihipStream_tbPNSt15iterator_traitsISM_E10value_typeEPNSS_ISN_E10value_typeEPSO_NS1_7vsmem_tEENKUlT_SM_SN_SO_E_clIPS9_SH_SI_SI_EESL_S11_SM_SN_SO_EUlS11_E0_NS1_11comp_targetILNS1_3genE8ELNS1_11target_archE1030ELNS1_3gpuE2ELNS1_3repE0EEENS1_38merge_mergepath_config_static_selectorELNS0_4arch9wavefront6targetE1EEEvSN_,comdat
	.protected	_ZN7rocprim17ROCPRIM_400000_NS6detail17trampoline_kernelINS0_14default_configENS1_38merge_sort_block_merge_config_selectorIN6thrust23THRUST_200600_302600_NS5tupleIffNS6_9null_typeES8_S8_S8_S8_S8_S8_S8_EENS0_10empty_typeEEEZZNS1_27merge_sort_block_merge_implIS3_NS6_6detail15normal_iteratorINS6_10device_ptrIS9_EEEEPSA_mNS6_4lessIS9_EEEE10hipError_tT0_T1_T2_jT3_P12ihipStream_tbPNSt15iterator_traitsISM_E10value_typeEPNSS_ISN_E10value_typeEPSO_NS1_7vsmem_tEENKUlT_SM_SN_SO_E_clIPS9_SH_SI_SI_EESL_S11_SM_SN_SO_EUlS11_E0_NS1_11comp_targetILNS1_3genE8ELNS1_11target_archE1030ELNS1_3gpuE2ELNS1_3repE0EEENS1_38merge_mergepath_config_static_selectorELNS0_4arch9wavefront6targetE1EEEvSN_ ; -- Begin function _ZN7rocprim17ROCPRIM_400000_NS6detail17trampoline_kernelINS0_14default_configENS1_38merge_sort_block_merge_config_selectorIN6thrust23THRUST_200600_302600_NS5tupleIffNS6_9null_typeES8_S8_S8_S8_S8_S8_S8_EENS0_10empty_typeEEEZZNS1_27merge_sort_block_merge_implIS3_NS6_6detail15normal_iteratorINS6_10device_ptrIS9_EEEEPSA_mNS6_4lessIS9_EEEE10hipError_tT0_T1_T2_jT3_P12ihipStream_tbPNSt15iterator_traitsISM_E10value_typeEPNSS_ISN_E10value_typeEPSO_NS1_7vsmem_tEENKUlT_SM_SN_SO_E_clIPS9_SH_SI_SI_EESL_S11_SM_SN_SO_EUlS11_E0_NS1_11comp_targetILNS1_3genE8ELNS1_11target_archE1030ELNS1_3gpuE2ELNS1_3repE0EEENS1_38merge_mergepath_config_static_selectorELNS0_4arch9wavefront6targetE1EEEvSN_
	.globl	_ZN7rocprim17ROCPRIM_400000_NS6detail17trampoline_kernelINS0_14default_configENS1_38merge_sort_block_merge_config_selectorIN6thrust23THRUST_200600_302600_NS5tupleIffNS6_9null_typeES8_S8_S8_S8_S8_S8_S8_EENS0_10empty_typeEEEZZNS1_27merge_sort_block_merge_implIS3_NS6_6detail15normal_iteratorINS6_10device_ptrIS9_EEEEPSA_mNS6_4lessIS9_EEEE10hipError_tT0_T1_T2_jT3_P12ihipStream_tbPNSt15iterator_traitsISM_E10value_typeEPNSS_ISN_E10value_typeEPSO_NS1_7vsmem_tEENKUlT_SM_SN_SO_E_clIPS9_SH_SI_SI_EESL_S11_SM_SN_SO_EUlS11_E0_NS1_11comp_targetILNS1_3genE8ELNS1_11target_archE1030ELNS1_3gpuE2ELNS1_3repE0EEENS1_38merge_mergepath_config_static_selectorELNS0_4arch9wavefront6targetE1EEEvSN_
	.p2align	8
	.type	_ZN7rocprim17ROCPRIM_400000_NS6detail17trampoline_kernelINS0_14default_configENS1_38merge_sort_block_merge_config_selectorIN6thrust23THRUST_200600_302600_NS5tupleIffNS6_9null_typeES8_S8_S8_S8_S8_S8_S8_EENS0_10empty_typeEEEZZNS1_27merge_sort_block_merge_implIS3_NS6_6detail15normal_iteratorINS6_10device_ptrIS9_EEEEPSA_mNS6_4lessIS9_EEEE10hipError_tT0_T1_T2_jT3_P12ihipStream_tbPNSt15iterator_traitsISM_E10value_typeEPNSS_ISN_E10value_typeEPSO_NS1_7vsmem_tEENKUlT_SM_SN_SO_E_clIPS9_SH_SI_SI_EESL_S11_SM_SN_SO_EUlS11_E0_NS1_11comp_targetILNS1_3genE8ELNS1_11target_archE1030ELNS1_3gpuE2ELNS1_3repE0EEENS1_38merge_mergepath_config_static_selectorELNS0_4arch9wavefront6targetE1EEEvSN_,@function
_ZN7rocprim17ROCPRIM_400000_NS6detail17trampoline_kernelINS0_14default_configENS1_38merge_sort_block_merge_config_selectorIN6thrust23THRUST_200600_302600_NS5tupleIffNS6_9null_typeES8_S8_S8_S8_S8_S8_S8_EENS0_10empty_typeEEEZZNS1_27merge_sort_block_merge_implIS3_NS6_6detail15normal_iteratorINS6_10device_ptrIS9_EEEEPSA_mNS6_4lessIS9_EEEE10hipError_tT0_T1_T2_jT3_P12ihipStream_tbPNSt15iterator_traitsISM_E10value_typeEPNSS_ISN_E10value_typeEPSO_NS1_7vsmem_tEENKUlT_SM_SN_SO_E_clIPS9_SH_SI_SI_EESL_S11_SM_SN_SO_EUlS11_E0_NS1_11comp_targetILNS1_3genE8ELNS1_11target_archE1030ELNS1_3gpuE2ELNS1_3repE0EEENS1_38merge_mergepath_config_static_selectorELNS0_4arch9wavefront6targetE1EEEvSN_: ; @_ZN7rocprim17ROCPRIM_400000_NS6detail17trampoline_kernelINS0_14default_configENS1_38merge_sort_block_merge_config_selectorIN6thrust23THRUST_200600_302600_NS5tupleIffNS6_9null_typeES8_S8_S8_S8_S8_S8_S8_EENS0_10empty_typeEEEZZNS1_27merge_sort_block_merge_implIS3_NS6_6detail15normal_iteratorINS6_10device_ptrIS9_EEEEPSA_mNS6_4lessIS9_EEEE10hipError_tT0_T1_T2_jT3_P12ihipStream_tbPNSt15iterator_traitsISM_E10value_typeEPNSS_ISN_E10value_typeEPSO_NS1_7vsmem_tEENKUlT_SM_SN_SO_E_clIPS9_SH_SI_SI_EESL_S11_SM_SN_SO_EUlS11_E0_NS1_11comp_targetILNS1_3genE8ELNS1_11target_archE1030ELNS1_3gpuE2ELNS1_3repE0EEENS1_38merge_mergepath_config_static_selectorELNS0_4arch9wavefront6targetE1EEEvSN_
; %bb.0:
	.section	.rodata,"a",@progbits
	.p2align	6, 0x0
	.amdhsa_kernel _ZN7rocprim17ROCPRIM_400000_NS6detail17trampoline_kernelINS0_14default_configENS1_38merge_sort_block_merge_config_selectorIN6thrust23THRUST_200600_302600_NS5tupleIffNS6_9null_typeES8_S8_S8_S8_S8_S8_S8_EENS0_10empty_typeEEEZZNS1_27merge_sort_block_merge_implIS3_NS6_6detail15normal_iteratorINS6_10device_ptrIS9_EEEEPSA_mNS6_4lessIS9_EEEE10hipError_tT0_T1_T2_jT3_P12ihipStream_tbPNSt15iterator_traitsISM_E10value_typeEPNSS_ISN_E10value_typeEPSO_NS1_7vsmem_tEENKUlT_SM_SN_SO_E_clIPS9_SH_SI_SI_EESL_S11_SM_SN_SO_EUlS11_E0_NS1_11comp_targetILNS1_3genE8ELNS1_11target_archE1030ELNS1_3gpuE2ELNS1_3repE0EEENS1_38merge_mergepath_config_static_selectorELNS0_4arch9wavefront6targetE1EEEvSN_
		.amdhsa_group_segment_fixed_size 0
		.amdhsa_private_segment_fixed_size 0
		.amdhsa_kernarg_size 72
		.amdhsa_user_sgpr_count 2
		.amdhsa_user_sgpr_dispatch_ptr 0
		.amdhsa_user_sgpr_queue_ptr 0
		.amdhsa_user_sgpr_kernarg_segment_ptr 1
		.amdhsa_user_sgpr_dispatch_id 0
		.amdhsa_user_sgpr_kernarg_preload_length 0
		.amdhsa_user_sgpr_kernarg_preload_offset 0
		.amdhsa_user_sgpr_private_segment_size 0
		.amdhsa_uses_dynamic_stack 0
		.amdhsa_enable_private_segment 0
		.amdhsa_system_sgpr_workgroup_id_x 1
		.amdhsa_system_sgpr_workgroup_id_y 0
		.amdhsa_system_sgpr_workgroup_id_z 0
		.amdhsa_system_sgpr_workgroup_info 0
		.amdhsa_system_vgpr_workitem_id 0
		.amdhsa_next_free_vgpr 1
		.amdhsa_next_free_sgpr 0
		.amdhsa_accum_offset 4
		.amdhsa_reserve_vcc 0
		.amdhsa_float_round_mode_32 0
		.amdhsa_float_round_mode_16_64 0
		.amdhsa_float_denorm_mode_32 3
		.amdhsa_float_denorm_mode_16_64 3
		.amdhsa_dx10_clamp 1
		.amdhsa_ieee_mode 1
		.amdhsa_fp16_overflow 0
		.amdhsa_tg_split 0
		.amdhsa_exception_fp_ieee_invalid_op 0
		.amdhsa_exception_fp_denorm_src 0
		.amdhsa_exception_fp_ieee_div_zero 0
		.amdhsa_exception_fp_ieee_overflow 0
		.amdhsa_exception_fp_ieee_underflow 0
		.amdhsa_exception_fp_ieee_inexact 0
		.amdhsa_exception_int_div_zero 0
	.end_amdhsa_kernel
	.section	.text._ZN7rocprim17ROCPRIM_400000_NS6detail17trampoline_kernelINS0_14default_configENS1_38merge_sort_block_merge_config_selectorIN6thrust23THRUST_200600_302600_NS5tupleIffNS6_9null_typeES8_S8_S8_S8_S8_S8_S8_EENS0_10empty_typeEEEZZNS1_27merge_sort_block_merge_implIS3_NS6_6detail15normal_iteratorINS6_10device_ptrIS9_EEEEPSA_mNS6_4lessIS9_EEEE10hipError_tT0_T1_T2_jT3_P12ihipStream_tbPNSt15iterator_traitsISM_E10value_typeEPNSS_ISN_E10value_typeEPSO_NS1_7vsmem_tEENKUlT_SM_SN_SO_E_clIPS9_SH_SI_SI_EESL_S11_SM_SN_SO_EUlS11_E0_NS1_11comp_targetILNS1_3genE8ELNS1_11target_archE1030ELNS1_3gpuE2ELNS1_3repE0EEENS1_38merge_mergepath_config_static_selectorELNS0_4arch9wavefront6targetE1EEEvSN_,"axG",@progbits,_ZN7rocprim17ROCPRIM_400000_NS6detail17trampoline_kernelINS0_14default_configENS1_38merge_sort_block_merge_config_selectorIN6thrust23THRUST_200600_302600_NS5tupleIffNS6_9null_typeES8_S8_S8_S8_S8_S8_S8_EENS0_10empty_typeEEEZZNS1_27merge_sort_block_merge_implIS3_NS6_6detail15normal_iteratorINS6_10device_ptrIS9_EEEEPSA_mNS6_4lessIS9_EEEE10hipError_tT0_T1_T2_jT3_P12ihipStream_tbPNSt15iterator_traitsISM_E10value_typeEPNSS_ISN_E10value_typeEPSO_NS1_7vsmem_tEENKUlT_SM_SN_SO_E_clIPS9_SH_SI_SI_EESL_S11_SM_SN_SO_EUlS11_E0_NS1_11comp_targetILNS1_3genE8ELNS1_11target_archE1030ELNS1_3gpuE2ELNS1_3repE0EEENS1_38merge_mergepath_config_static_selectorELNS0_4arch9wavefront6targetE1EEEvSN_,comdat
.Lfunc_end42:
	.size	_ZN7rocprim17ROCPRIM_400000_NS6detail17trampoline_kernelINS0_14default_configENS1_38merge_sort_block_merge_config_selectorIN6thrust23THRUST_200600_302600_NS5tupleIffNS6_9null_typeES8_S8_S8_S8_S8_S8_S8_EENS0_10empty_typeEEEZZNS1_27merge_sort_block_merge_implIS3_NS6_6detail15normal_iteratorINS6_10device_ptrIS9_EEEEPSA_mNS6_4lessIS9_EEEE10hipError_tT0_T1_T2_jT3_P12ihipStream_tbPNSt15iterator_traitsISM_E10value_typeEPNSS_ISN_E10value_typeEPSO_NS1_7vsmem_tEENKUlT_SM_SN_SO_E_clIPS9_SH_SI_SI_EESL_S11_SM_SN_SO_EUlS11_E0_NS1_11comp_targetILNS1_3genE8ELNS1_11target_archE1030ELNS1_3gpuE2ELNS1_3repE0EEENS1_38merge_mergepath_config_static_selectorELNS0_4arch9wavefront6targetE1EEEvSN_, .Lfunc_end42-_ZN7rocprim17ROCPRIM_400000_NS6detail17trampoline_kernelINS0_14default_configENS1_38merge_sort_block_merge_config_selectorIN6thrust23THRUST_200600_302600_NS5tupleIffNS6_9null_typeES8_S8_S8_S8_S8_S8_S8_EENS0_10empty_typeEEEZZNS1_27merge_sort_block_merge_implIS3_NS6_6detail15normal_iteratorINS6_10device_ptrIS9_EEEEPSA_mNS6_4lessIS9_EEEE10hipError_tT0_T1_T2_jT3_P12ihipStream_tbPNSt15iterator_traitsISM_E10value_typeEPNSS_ISN_E10value_typeEPSO_NS1_7vsmem_tEENKUlT_SM_SN_SO_E_clIPS9_SH_SI_SI_EESL_S11_SM_SN_SO_EUlS11_E0_NS1_11comp_targetILNS1_3genE8ELNS1_11target_archE1030ELNS1_3gpuE2ELNS1_3repE0EEENS1_38merge_mergepath_config_static_selectorELNS0_4arch9wavefront6targetE1EEEvSN_
                                        ; -- End function
	.section	.AMDGPU.csdata,"",@progbits
; Kernel info:
; codeLenInByte = 0
; NumSgprs: 6
; NumVgprs: 0
; NumAgprs: 0
; TotalNumVgprs: 0
; ScratchSize: 0
; MemoryBound: 0
; FloatMode: 240
; IeeeMode: 1
; LDSByteSize: 0 bytes/workgroup (compile time only)
; SGPRBlocks: 0
; VGPRBlocks: 0
; NumSGPRsForWavesPerEU: 6
; NumVGPRsForWavesPerEU: 1
; AccumOffset: 4
; Occupancy: 8
; WaveLimiterHint : 0
; COMPUTE_PGM_RSRC2:SCRATCH_EN: 0
; COMPUTE_PGM_RSRC2:USER_SGPR: 2
; COMPUTE_PGM_RSRC2:TRAP_HANDLER: 0
; COMPUTE_PGM_RSRC2:TGID_X_EN: 1
; COMPUTE_PGM_RSRC2:TGID_Y_EN: 0
; COMPUTE_PGM_RSRC2:TGID_Z_EN: 0
; COMPUTE_PGM_RSRC2:TIDIG_COMP_CNT: 0
; COMPUTE_PGM_RSRC3_GFX90A:ACCUM_OFFSET: 0
; COMPUTE_PGM_RSRC3_GFX90A:TG_SPLIT: 0
	.section	.text._ZN7rocprim17ROCPRIM_400000_NS6detail17trampoline_kernelINS0_14default_configENS1_38merge_sort_block_merge_config_selectorIN6thrust23THRUST_200600_302600_NS5tupleIffNS6_9null_typeES8_S8_S8_S8_S8_S8_S8_EENS0_10empty_typeEEEZZNS1_27merge_sort_block_merge_implIS3_NS6_6detail15normal_iteratorINS6_10device_ptrIS9_EEEEPSA_mNS6_4lessIS9_EEEE10hipError_tT0_T1_T2_jT3_P12ihipStream_tbPNSt15iterator_traitsISM_E10value_typeEPNSS_ISN_E10value_typeEPSO_NS1_7vsmem_tEENKUlT_SM_SN_SO_E_clIPS9_SH_SI_SI_EESL_S11_SM_SN_SO_EUlS11_E1_NS1_11comp_targetILNS1_3genE0ELNS1_11target_archE4294967295ELNS1_3gpuE0ELNS1_3repE0EEENS1_36merge_oddeven_config_static_selectorELNS0_4arch9wavefront6targetE1EEEvSN_,"axG",@progbits,_ZN7rocprim17ROCPRIM_400000_NS6detail17trampoline_kernelINS0_14default_configENS1_38merge_sort_block_merge_config_selectorIN6thrust23THRUST_200600_302600_NS5tupleIffNS6_9null_typeES8_S8_S8_S8_S8_S8_S8_EENS0_10empty_typeEEEZZNS1_27merge_sort_block_merge_implIS3_NS6_6detail15normal_iteratorINS6_10device_ptrIS9_EEEEPSA_mNS6_4lessIS9_EEEE10hipError_tT0_T1_T2_jT3_P12ihipStream_tbPNSt15iterator_traitsISM_E10value_typeEPNSS_ISN_E10value_typeEPSO_NS1_7vsmem_tEENKUlT_SM_SN_SO_E_clIPS9_SH_SI_SI_EESL_S11_SM_SN_SO_EUlS11_E1_NS1_11comp_targetILNS1_3genE0ELNS1_11target_archE4294967295ELNS1_3gpuE0ELNS1_3repE0EEENS1_36merge_oddeven_config_static_selectorELNS0_4arch9wavefront6targetE1EEEvSN_,comdat
	.protected	_ZN7rocprim17ROCPRIM_400000_NS6detail17trampoline_kernelINS0_14default_configENS1_38merge_sort_block_merge_config_selectorIN6thrust23THRUST_200600_302600_NS5tupleIffNS6_9null_typeES8_S8_S8_S8_S8_S8_S8_EENS0_10empty_typeEEEZZNS1_27merge_sort_block_merge_implIS3_NS6_6detail15normal_iteratorINS6_10device_ptrIS9_EEEEPSA_mNS6_4lessIS9_EEEE10hipError_tT0_T1_T2_jT3_P12ihipStream_tbPNSt15iterator_traitsISM_E10value_typeEPNSS_ISN_E10value_typeEPSO_NS1_7vsmem_tEENKUlT_SM_SN_SO_E_clIPS9_SH_SI_SI_EESL_S11_SM_SN_SO_EUlS11_E1_NS1_11comp_targetILNS1_3genE0ELNS1_11target_archE4294967295ELNS1_3gpuE0ELNS1_3repE0EEENS1_36merge_oddeven_config_static_selectorELNS0_4arch9wavefront6targetE1EEEvSN_ ; -- Begin function _ZN7rocprim17ROCPRIM_400000_NS6detail17trampoline_kernelINS0_14default_configENS1_38merge_sort_block_merge_config_selectorIN6thrust23THRUST_200600_302600_NS5tupleIffNS6_9null_typeES8_S8_S8_S8_S8_S8_S8_EENS0_10empty_typeEEEZZNS1_27merge_sort_block_merge_implIS3_NS6_6detail15normal_iteratorINS6_10device_ptrIS9_EEEEPSA_mNS6_4lessIS9_EEEE10hipError_tT0_T1_T2_jT3_P12ihipStream_tbPNSt15iterator_traitsISM_E10value_typeEPNSS_ISN_E10value_typeEPSO_NS1_7vsmem_tEENKUlT_SM_SN_SO_E_clIPS9_SH_SI_SI_EESL_S11_SM_SN_SO_EUlS11_E1_NS1_11comp_targetILNS1_3genE0ELNS1_11target_archE4294967295ELNS1_3gpuE0ELNS1_3repE0EEENS1_36merge_oddeven_config_static_selectorELNS0_4arch9wavefront6targetE1EEEvSN_
	.globl	_ZN7rocprim17ROCPRIM_400000_NS6detail17trampoline_kernelINS0_14default_configENS1_38merge_sort_block_merge_config_selectorIN6thrust23THRUST_200600_302600_NS5tupleIffNS6_9null_typeES8_S8_S8_S8_S8_S8_S8_EENS0_10empty_typeEEEZZNS1_27merge_sort_block_merge_implIS3_NS6_6detail15normal_iteratorINS6_10device_ptrIS9_EEEEPSA_mNS6_4lessIS9_EEEE10hipError_tT0_T1_T2_jT3_P12ihipStream_tbPNSt15iterator_traitsISM_E10value_typeEPNSS_ISN_E10value_typeEPSO_NS1_7vsmem_tEENKUlT_SM_SN_SO_E_clIPS9_SH_SI_SI_EESL_S11_SM_SN_SO_EUlS11_E1_NS1_11comp_targetILNS1_3genE0ELNS1_11target_archE4294967295ELNS1_3gpuE0ELNS1_3repE0EEENS1_36merge_oddeven_config_static_selectorELNS0_4arch9wavefront6targetE1EEEvSN_
	.p2align	8
	.type	_ZN7rocprim17ROCPRIM_400000_NS6detail17trampoline_kernelINS0_14default_configENS1_38merge_sort_block_merge_config_selectorIN6thrust23THRUST_200600_302600_NS5tupleIffNS6_9null_typeES8_S8_S8_S8_S8_S8_S8_EENS0_10empty_typeEEEZZNS1_27merge_sort_block_merge_implIS3_NS6_6detail15normal_iteratorINS6_10device_ptrIS9_EEEEPSA_mNS6_4lessIS9_EEEE10hipError_tT0_T1_T2_jT3_P12ihipStream_tbPNSt15iterator_traitsISM_E10value_typeEPNSS_ISN_E10value_typeEPSO_NS1_7vsmem_tEENKUlT_SM_SN_SO_E_clIPS9_SH_SI_SI_EESL_S11_SM_SN_SO_EUlS11_E1_NS1_11comp_targetILNS1_3genE0ELNS1_11target_archE4294967295ELNS1_3gpuE0ELNS1_3repE0EEENS1_36merge_oddeven_config_static_selectorELNS0_4arch9wavefront6targetE1EEEvSN_,@function
_ZN7rocprim17ROCPRIM_400000_NS6detail17trampoline_kernelINS0_14default_configENS1_38merge_sort_block_merge_config_selectorIN6thrust23THRUST_200600_302600_NS5tupleIffNS6_9null_typeES8_S8_S8_S8_S8_S8_S8_EENS0_10empty_typeEEEZZNS1_27merge_sort_block_merge_implIS3_NS6_6detail15normal_iteratorINS6_10device_ptrIS9_EEEEPSA_mNS6_4lessIS9_EEEE10hipError_tT0_T1_T2_jT3_P12ihipStream_tbPNSt15iterator_traitsISM_E10value_typeEPNSS_ISN_E10value_typeEPSO_NS1_7vsmem_tEENKUlT_SM_SN_SO_E_clIPS9_SH_SI_SI_EESL_S11_SM_SN_SO_EUlS11_E1_NS1_11comp_targetILNS1_3genE0ELNS1_11target_archE4294967295ELNS1_3gpuE0ELNS1_3repE0EEENS1_36merge_oddeven_config_static_selectorELNS0_4arch9wavefront6targetE1EEEvSN_: ; @_ZN7rocprim17ROCPRIM_400000_NS6detail17trampoline_kernelINS0_14default_configENS1_38merge_sort_block_merge_config_selectorIN6thrust23THRUST_200600_302600_NS5tupleIffNS6_9null_typeES8_S8_S8_S8_S8_S8_S8_EENS0_10empty_typeEEEZZNS1_27merge_sort_block_merge_implIS3_NS6_6detail15normal_iteratorINS6_10device_ptrIS9_EEEEPSA_mNS6_4lessIS9_EEEE10hipError_tT0_T1_T2_jT3_P12ihipStream_tbPNSt15iterator_traitsISM_E10value_typeEPNSS_ISN_E10value_typeEPSO_NS1_7vsmem_tEENKUlT_SM_SN_SO_E_clIPS9_SH_SI_SI_EESL_S11_SM_SN_SO_EUlS11_E1_NS1_11comp_targetILNS1_3genE0ELNS1_11target_archE4294967295ELNS1_3gpuE0ELNS1_3repE0EEENS1_36merge_oddeven_config_static_selectorELNS0_4arch9wavefront6targetE1EEEvSN_
; %bb.0:
	.section	.rodata,"a",@progbits
	.p2align	6, 0x0
	.amdhsa_kernel _ZN7rocprim17ROCPRIM_400000_NS6detail17trampoline_kernelINS0_14default_configENS1_38merge_sort_block_merge_config_selectorIN6thrust23THRUST_200600_302600_NS5tupleIffNS6_9null_typeES8_S8_S8_S8_S8_S8_S8_EENS0_10empty_typeEEEZZNS1_27merge_sort_block_merge_implIS3_NS6_6detail15normal_iteratorINS6_10device_ptrIS9_EEEEPSA_mNS6_4lessIS9_EEEE10hipError_tT0_T1_T2_jT3_P12ihipStream_tbPNSt15iterator_traitsISM_E10value_typeEPNSS_ISN_E10value_typeEPSO_NS1_7vsmem_tEENKUlT_SM_SN_SO_E_clIPS9_SH_SI_SI_EESL_S11_SM_SN_SO_EUlS11_E1_NS1_11comp_targetILNS1_3genE0ELNS1_11target_archE4294967295ELNS1_3gpuE0ELNS1_3repE0EEENS1_36merge_oddeven_config_static_selectorELNS0_4arch9wavefront6targetE1EEEvSN_
		.amdhsa_group_segment_fixed_size 0
		.amdhsa_private_segment_fixed_size 0
		.amdhsa_kernarg_size 56
		.amdhsa_user_sgpr_count 2
		.amdhsa_user_sgpr_dispatch_ptr 0
		.amdhsa_user_sgpr_queue_ptr 0
		.amdhsa_user_sgpr_kernarg_segment_ptr 1
		.amdhsa_user_sgpr_dispatch_id 0
		.amdhsa_user_sgpr_kernarg_preload_length 0
		.amdhsa_user_sgpr_kernarg_preload_offset 0
		.amdhsa_user_sgpr_private_segment_size 0
		.amdhsa_uses_dynamic_stack 0
		.amdhsa_enable_private_segment 0
		.amdhsa_system_sgpr_workgroup_id_x 1
		.amdhsa_system_sgpr_workgroup_id_y 0
		.amdhsa_system_sgpr_workgroup_id_z 0
		.amdhsa_system_sgpr_workgroup_info 0
		.amdhsa_system_vgpr_workitem_id 0
		.amdhsa_next_free_vgpr 1
		.amdhsa_next_free_sgpr 0
		.amdhsa_accum_offset 4
		.amdhsa_reserve_vcc 0
		.amdhsa_float_round_mode_32 0
		.amdhsa_float_round_mode_16_64 0
		.amdhsa_float_denorm_mode_32 3
		.amdhsa_float_denorm_mode_16_64 3
		.amdhsa_dx10_clamp 1
		.amdhsa_ieee_mode 1
		.amdhsa_fp16_overflow 0
		.amdhsa_tg_split 0
		.amdhsa_exception_fp_ieee_invalid_op 0
		.amdhsa_exception_fp_denorm_src 0
		.amdhsa_exception_fp_ieee_div_zero 0
		.amdhsa_exception_fp_ieee_overflow 0
		.amdhsa_exception_fp_ieee_underflow 0
		.amdhsa_exception_fp_ieee_inexact 0
		.amdhsa_exception_int_div_zero 0
	.end_amdhsa_kernel
	.section	.text._ZN7rocprim17ROCPRIM_400000_NS6detail17trampoline_kernelINS0_14default_configENS1_38merge_sort_block_merge_config_selectorIN6thrust23THRUST_200600_302600_NS5tupleIffNS6_9null_typeES8_S8_S8_S8_S8_S8_S8_EENS0_10empty_typeEEEZZNS1_27merge_sort_block_merge_implIS3_NS6_6detail15normal_iteratorINS6_10device_ptrIS9_EEEEPSA_mNS6_4lessIS9_EEEE10hipError_tT0_T1_T2_jT3_P12ihipStream_tbPNSt15iterator_traitsISM_E10value_typeEPNSS_ISN_E10value_typeEPSO_NS1_7vsmem_tEENKUlT_SM_SN_SO_E_clIPS9_SH_SI_SI_EESL_S11_SM_SN_SO_EUlS11_E1_NS1_11comp_targetILNS1_3genE0ELNS1_11target_archE4294967295ELNS1_3gpuE0ELNS1_3repE0EEENS1_36merge_oddeven_config_static_selectorELNS0_4arch9wavefront6targetE1EEEvSN_,"axG",@progbits,_ZN7rocprim17ROCPRIM_400000_NS6detail17trampoline_kernelINS0_14default_configENS1_38merge_sort_block_merge_config_selectorIN6thrust23THRUST_200600_302600_NS5tupleIffNS6_9null_typeES8_S8_S8_S8_S8_S8_S8_EENS0_10empty_typeEEEZZNS1_27merge_sort_block_merge_implIS3_NS6_6detail15normal_iteratorINS6_10device_ptrIS9_EEEEPSA_mNS6_4lessIS9_EEEE10hipError_tT0_T1_T2_jT3_P12ihipStream_tbPNSt15iterator_traitsISM_E10value_typeEPNSS_ISN_E10value_typeEPSO_NS1_7vsmem_tEENKUlT_SM_SN_SO_E_clIPS9_SH_SI_SI_EESL_S11_SM_SN_SO_EUlS11_E1_NS1_11comp_targetILNS1_3genE0ELNS1_11target_archE4294967295ELNS1_3gpuE0ELNS1_3repE0EEENS1_36merge_oddeven_config_static_selectorELNS0_4arch9wavefront6targetE1EEEvSN_,comdat
.Lfunc_end43:
	.size	_ZN7rocprim17ROCPRIM_400000_NS6detail17trampoline_kernelINS0_14default_configENS1_38merge_sort_block_merge_config_selectorIN6thrust23THRUST_200600_302600_NS5tupleIffNS6_9null_typeES8_S8_S8_S8_S8_S8_S8_EENS0_10empty_typeEEEZZNS1_27merge_sort_block_merge_implIS3_NS6_6detail15normal_iteratorINS6_10device_ptrIS9_EEEEPSA_mNS6_4lessIS9_EEEE10hipError_tT0_T1_T2_jT3_P12ihipStream_tbPNSt15iterator_traitsISM_E10value_typeEPNSS_ISN_E10value_typeEPSO_NS1_7vsmem_tEENKUlT_SM_SN_SO_E_clIPS9_SH_SI_SI_EESL_S11_SM_SN_SO_EUlS11_E1_NS1_11comp_targetILNS1_3genE0ELNS1_11target_archE4294967295ELNS1_3gpuE0ELNS1_3repE0EEENS1_36merge_oddeven_config_static_selectorELNS0_4arch9wavefront6targetE1EEEvSN_, .Lfunc_end43-_ZN7rocprim17ROCPRIM_400000_NS6detail17trampoline_kernelINS0_14default_configENS1_38merge_sort_block_merge_config_selectorIN6thrust23THRUST_200600_302600_NS5tupleIffNS6_9null_typeES8_S8_S8_S8_S8_S8_S8_EENS0_10empty_typeEEEZZNS1_27merge_sort_block_merge_implIS3_NS6_6detail15normal_iteratorINS6_10device_ptrIS9_EEEEPSA_mNS6_4lessIS9_EEEE10hipError_tT0_T1_T2_jT3_P12ihipStream_tbPNSt15iterator_traitsISM_E10value_typeEPNSS_ISN_E10value_typeEPSO_NS1_7vsmem_tEENKUlT_SM_SN_SO_E_clIPS9_SH_SI_SI_EESL_S11_SM_SN_SO_EUlS11_E1_NS1_11comp_targetILNS1_3genE0ELNS1_11target_archE4294967295ELNS1_3gpuE0ELNS1_3repE0EEENS1_36merge_oddeven_config_static_selectorELNS0_4arch9wavefront6targetE1EEEvSN_
                                        ; -- End function
	.section	.AMDGPU.csdata,"",@progbits
; Kernel info:
; codeLenInByte = 0
; NumSgprs: 6
; NumVgprs: 0
; NumAgprs: 0
; TotalNumVgprs: 0
; ScratchSize: 0
; MemoryBound: 0
; FloatMode: 240
; IeeeMode: 1
; LDSByteSize: 0 bytes/workgroup (compile time only)
; SGPRBlocks: 0
; VGPRBlocks: 0
; NumSGPRsForWavesPerEU: 6
; NumVGPRsForWavesPerEU: 1
; AccumOffset: 4
; Occupancy: 8
; WaveLimiterHint : 0
; COMPUTE_PGM_RSRC2:SCRATCH_EN: 0
; COMPUTE_PGM_RSRC2:USER_SGPR: 2
; COMPUTE_PGM_RSRC2:TRAP_HANDLER: 0
; COMPUTE_PGM_RSRC2:TGID_X_EN: 1
; COMPUTE_PGM_RSRC2:TGID_Y_EN: 0
; COMPUTE_PGM_RSRC2:TGID_Z_EN: 0
; COMPUTE_PGM_RSRC2:TIDIG_COMP_CNT: 0
; COMPUTE_PGM_RSRC3_GFX90A:ACCUM_OFFSET: 0
; COMPUTE_PGM_RSRC3_GFX90A:TG_SPLIT: 0
	.section	.text._ZN7rocprim17ROCPRIM_400000_NS6detail17trampoline_kernelINS0_14default_configENS1_38merge_sort_block_merge_config_selectorIN6thrust23THRUST_200600_302600_NS5tupleIffNS6_9null_typeES8_S8_S8_S8_S8_S8_S8_EENS0_10empty_typeEEEZZNS1_27merge_sort_block_merge_implIS3_NS6_6detail15normal_iteratorINS6_10device_ptrIS9_EEEEPSA_mNS6_4lessIS9_EEEE10hipError_tT0_T1_T2_jT3_P12ihipStream_tbPNSt15iterator_traitsISM_E10value_typeEPNSS_ISN_E10value_typeEPSO_NS1_7vsmem_tEENKUlT_SM_SN_SO_E_clIPS9_SH_SI_SI_EESL_S11_SM_SN_SO_EUlS11_E1_NS1_11comp_targetILNS1_3genE10ELNS1_11target_archE1201ELNS1_3gpuE5ELNS1_3repE0EEENS1_36merge_oddeven_config_static_selectorELNS0_4arch9wavefront6targetE1EEEvSN_,"axG",@progbits,_ZN7rocprim17ROCPRIM_400000_NS6detail17trampoline_kernelINS0_14default_configENS1_38merge_sort_block_merge_config_selectorIN6thrust23THRUST_200600_302600_NS5tupleIffNS6_9null_typeES8_S8_S8_S8_S8_S8_S8_EENS0_10empty_typeEEEZZNS1_27merge_sort_block_merge_implIS3_NS6_6detail15normal_iteratorINS6_10device_ptrIS9_EEEEPSA_mNS6_4lessIS9_EEEE10hipError_tT0_T1_T2_jT3_P12ihipStream_tbPNSt15iterator_traitsISM_E10value_typeEPNSS_ISN_E10value_typeEPSO_NS1_7vsmem_tEENKUlT_SM_SN_SO_E_clIPS9_SH_SI_SI_EESL_S11_SM_SN_SO_EUlS11_E1_NS1_11comp_targetILNS1_3genE10ELNS1_11target_archE1201ELNS1_3gpuE5ELNS1_3repE0EEENS1_36merge_oddeven_config_static_selectorELNS0_4arch9wavefront6targetE1EEEvSN_,comdat
	.protected	_ZN7rocprim17ROCPRIM_400000_NS6detail17trampoline_kernelINS0_14default_configENS1_38merge_sort_block_merge_config_selectorIN6thrust23THRUST_200600_302600_NS5tupleIffNS6_9null_typeES8_S8_S8_S8_S8_S8_S8_EENS0_10empty_typeEEEZZNS1_27merge_sort_block_merge_implIS3_NS6_6detail15normal_iteratorINS6_10device_ptrIS9_EEEEPSA_mNS6_4lessIS9_EEEE10hipError_tT0_T1_T2_jT3_P12ihipStream_tbPNSt15iterator_traitsISM_E10value_typeEPNSS_ISN_E10value_typeEPSO_NS1_7vsmem_tEENKUlT_SM_SN_SO_E_clIPS9_SH_SI_SI_EESL_S11_SM_SN_SO_EUlS11_E1_NS1_11comp_targetILNS1_3genE10ELNS1_11target_archE1201ELNS1_3gpuE5ELNS1_3repE0EEENS1_36merge_oddeven_config_static_selectorELNS0_4arch9wavefront6targetE1EEEvSN_ ; -- Begin function _ZN7rocprim17ROCPRIM_400000_NS6detail17trampoline_kernelINS0_14default_configENS1_38merge_sort_block_merge_config_selectorIN6thrust23THRUST_200600_302600_NS5tupleIffNS6_9null_typeES8_S8_S8_S8_S8_S8_S8_EENS0_10empty_typeEEEZZNS1_27merge_sort_block_merge_implIS3_NS6_6detail15normal_iteratorINS6_10device_ptrIS9_EEEEPSA_mNS6_4lessIS9_EEEE10hipError_tT0_T1_T2_jT3_P12ihipStream_tbPNSt15iterator_traitsISM_E10value_typeEPNSS_ISN_E10value_typeEPSO_NS1_7vsmem_tEENKUlT_SM_SN_SO_E_clIPS9_SH_SI_SI_EESL_S11_SM_SN_SO_EUlS11_E1_NS1_11comp_targetILNS1_3genE10ELNS1_11target_archE1201ELNS1_3gpuE5ELNS1_3repE0EEENS1_36merge_oddeven_config_static_selectorELNS0_4arch9wavefront6targetE1EEEvSN_
	.globl	_ZN7rocprim17ROCPRIM_400000_NS6detail17trampoline_kernelINS0_14default_configENS1_38merge_sort_block_merge_config_selectorIN6thrust23THRUST_200600_302600_NS5tupleIffNS6_9null_typeES8_S8_S8_S8_S8_S8_S8_EENS0_10empty_typeEEEZZNS1_27merge_sort_block_merge_implIS3_NS6_6detail15normal_iteratorINS6_10device_ptrIS9_EEEEPSA_mNS6_4lessIS9_EEEE10hipError_tT0_T1_T2_jT3_P12ihipStream_tbPNSt15iterator_traitsISM_E10value_typeEPNSS_ISN_E10value_typeEPSO_NS1_7vsmem_tEENKUlT_SM_SN_SO_E_clIPS9_SH_SI_SI_EESL_S11_SM_SN_SO_EUlS11_E1_NS1_11comp_targetILNS1_3genE10ELNS1_11target_archE1201ELNS1_3gpuE5ELNS1_3repE0EEENS1_36merge_oddeven_config_static_selectorELNS0_4arch9wavefront6targetE1EEEvSN_
	.p2align	8
	.type	_ZN7rocprim17ROCPRIM_400000_NS6detail17trampoline_kernelINS0_14default_configENS1_38merge_sort_block_merge_config_selectorIN6thrust23THRUST_200600_302600_NS5tupleIffNS6_9null_typeES8_S8_S8_S8_S8_S8_S8_EENS0_10empty_typeEEEZZNS1_27merge_sort_block_merge_implIS3_NS6_6detail15normal_iteratorINS6_10device_ptrIS9_EEEEPSA_mNS6_4lessIS9_EEEE10hipError_tT0_T1_T2_jT3_P12ihipStream_tbPNSt15iterator_traitsISM_E10value_typeEPNSS_ISN_E10value_typeEPSO_NS1_7vsmem_tEENKUlT_SM_SN_SO_E_clIPS9_SH_SI_SI_EESL_S11_SM_SN_SO_EUlS11_E1_NS1_11comp_targetILNS1_3genE10ELNS1_11target_archE1201ELNS1_3gpuE5ELNS1_3repE0EEENS1_36merge_oddeven_config_static_selectorELNS0_4arch9wavefront6targetE1EEEvSN_,@function
_ZN7rocprim17ROCPRIM_400000_NS6detail17trampoline_kernelINS0_14default_configENS1_38merge_sort_block_merge_config_selectorIN6thrust23THRUST_200600_302600_NS5tupleIffNS6_9null_typeES8_S8_S8_S8_S8_S8_S8_EENS0_10empty_typeEEEZZNS1_27merge_sort_block_merge_implIS3_NS6_6detail15normal_iteratorINS6_10device_ptrIS9_EEEEPSA_mNS6_4lessIS9_EEEE10hipError_tT0_T1_T2_jT3_P12ihipStream_tbPNSt15iterator_traitsISM_E10value_typeEPNSS_ISN_E10value_typeEPSO_NS1_7vsmem_tEENKUlT_SM_SN_SO_E_clIPS9_SH_SI_SI_EESL_S11_SM_SN_SO_EUlS11_E1_NS1_11comp_targetILNS1_3genE10ELNS1_11target_archE1201ELNS1_3gpuE5ELNS1_3repE0EEENS1_36merge_oddeven_config_static_selectorELNS0_4arch9wavefront6targetE1EEEvSN_: ; @_ZN7rocprim17ROCPRIM_400000_NS6detail17trampoline_kernelINS0_14default_configENS1_38merge_sort_block_merge_config_selectorIN6thrust23THRUST_200600_302600_NS5tupleIffNS6_9null_typeES8_S8_S8_S8_S8_S8_S8_EENS0_10empty_typeEEEZZNS1_27merge_sort_block_merge_implIS3_NS6_6detail15normal_iteratorINS6_10device_ptrIS9_EEEEPSA_mNS6_4lessIS9_EEEE10hipError_tT0_T1_T2_jT3_P12ihipStream_tbPNSt15iterator_traitsISM_E10value_typeEPNSS_ISN_E10value_typeEPSO_NS1_7vsmem_tEENKUlT_SM_SN_SO_E_clIPS9_SH_SI_SI_EESL_S11_SM_SN_SO_EUlS11_E1_NS1_11comp_targetILNS1_3genE10ELNS1_11target_archE1201ELNS1_3gpuE5ELNS1_3repE0EEENS1_36merge_oddeven_config_static_selectorELNS0_4arch9wavefront6targetE1EEEvSN_
; %bb.0:
	.section	.rodata,"a",@progbits
	.p2align	6, 0x0
	.amdhsa_kernel _ZN7rocprim17ROCPRIM_400000_NS6detail17trampoline_kernelINS0_14default_configENS1_38merge_sort_block_merge_config_selectorIN6thrust23THRUST_200600_302600_NS5tupleIffNS6_9null_typeES8_S8_S8_S8_S8_S8_S8_EENS0_10empty_typeEEEZZNS1_27merge_sort_block_merge_implIS3_NS6_6detail15normal_iteratorINS6_10device_ptrIS9_EEEEPSA_mNS6_4lessIS9_EEEE10hipError_tT0_T1_T2_jT3_P12ihipStream_tbPNSt15iterator_traitsISM_E10value_typeEPNSS_ISN_E10value_typeEPSO_NS1_7vsmem_tEENKUlT_SM_SN_SO_E_clIPS9_SH_SI_SI_EESL_S11_SM_SN_SO_EUlS11_E1_NS1_11comp_targetILNS1_3genE10ELNS1_11target_archE1201ELNS1_3gpuE5ELNS1_3repE0EEENS1_36merge_oddeven_config_static_selectorELNS0_4arch9wavefront6targetE1EEEvSN_
		.amdhsa_group_segment_fixed_size 0
		.amdhsa_private_segment_fixed_size 0
		.amdhsa_kernarg_size 56
		.amdhsa_user_sgpr_count 2
		.amdhsa_user_sgpr_dispatch_ptr 0
		.amdhsa_user_sgpr_queue_ptr 0
		.amdhsa_user_sgpr_kernarg_segment_ptr 1
		.amdhsa_user_sgpr_dispatch_id 0
		.amdhsa_user_sgpr_kernarg_preload_length 0
		.amdhsa_user_sgpr_kernarg_preload_offset 0
		.amdhsa_user_sgpr_private_segment_size 0
		.amdhsa_uses_dynamic_stack 0
		.amdhsa_enable_private_segment 0
		.amdhsa_system_sgpr_workgroup_id_x 1
		.amdhsa_system_sgpr_workgroup_id_y 0
		.amdhsa_system_sgpr_workgroup_id_z 0
		.amdhsa_system_sgpr_workgroup_info 0
		.amdhsa_system_vgpr_workitem_id 0
		.amdhsa_next_free_vgpr 1
		.amdhsa_next_free_sgpr 0
		.amdhsa_accum_offset 4
		.amdhsa_reserve_vcc 0
		.amdhsa_float_round_mode_32 0
		.amdhsa_float_round_mode_16_64 0
		.amdhsa_float_denorm_mode_32 3
		.amdhsa_float_denorm_mode_16_64 3
		.amdhsa_dx10_clamp 1
		.amdhsa_ieee_mode 1
		.amdhsa_fp16_overflow 0
		.amdhsa_tg_split 0
		.amdhsa_exception_fp_ieee_invalid_op 0
		.amdhsa_exception_fp_denorm_src 0
		.amdhsa_exception_fp_ieee_div_zero 0
		.amdhsa_exception_fp_ieee_overflow 0
		.amdhsa_exception_fp_ieee_underflow 0
		.amdhsa_exception_fp_ieee_inexact 0
		.amdhsa_exception_int_div_zero 0
	.end_amdhsa_kernel
	.section	.text._ZN7rocprim17ROCPRIM_400000_NS6detail17trampoline_kernelINS0_14default_configENS1_38merge_sort_block_merge_config_selectorIN6thrust23THRUST_200600_302600_NS5tupleIffNS6_9null_typeES8_S8_S8_S8_S8_S8_S8_EENS0_10empty_typeEEEZZNS1_27merge_sort_block_merge_implIS3_NS6_6detail15normal_iteratorINS6_10device_ptrIS9_EEEEPSA_mNS6_4lessIS9_EEEE10hipError_tT0_T1_T2_jT3_P12ihipStream_tbPNSt15iterator_traitsISM_E10value_typeEPNSS_ISN_E10value_typeEPSO_NS1_7vsmem_tEENKUlT_SM_SN_SO_E_clIPS9_SH_SI_SI_EESL_S11_SM_SN_SO_EUlS11_E1_NS1_11comp_targetILNS1_3genE10ELNS1_11target_archE1201ELNS1_3gpuE5ELNS1_3repE0EEENS1_36merge_oddeven_config_static_selectorELNS0_4arch9wavefront6targetE1EEEvSN_,"axG",@progbits,_ZN7rocprim17ROCPRIM_400000_NS6detail17trampoline_kernelINS0_14default_configENS1_38merge_sort_block_merge_config_selectorIN6thrust23THRUST_200600_302600_NS5tupleIffNS6_9null_typeES8_S8_S8_S8_S8_S8_S8_EENS0_10empty_typeEEEZZNS1_27merge_sort_block_merge_implIS3_NS6_6detail15normal_iteratorINS6_10device_ptrIS9_EEEEPSA_mNS6_4lessIS9_EEEE10hipError_tT0_T1_T2_jT3_P12ihipStream_tbPNSt15iterator_traitsISM_E10value_typeEPNSS_ISN_E10value_typeEPSO_NS1_7vsmem_tEENKUlT_SM_SN_SO_E_clIPS9_SH_SI_SI_EESL_S11_SM_SN_SO_EUlS11_E1_NS1_11comp_targetILNS1_3genE10ELNS1_11target_archE1201ELNS1_3gpuE5ELNS1_3repE0EEENS1_36merge_oddeven_config_static_selectorELNS0_4arch9wavefront6targetE1EEEvSN_,comdat
.Lfunc_end44:
	.size	_ZN7rocprim17ROCPRIM_400000_NS6detail17trampoline_kernelINS0_14default_configENS1_38merge_sort_block_merge_config_selectorIN6thrust23THRUST_200600_302600_NS5tupleIffNS6_9null_typeES8_S8_S8_S8_S8_S8_S8_EENS0_10empty_typeEEEZZNS1_27merge_sort_block_merge_implIS3_NS6_6detail15normal_iteratorINS6_10device_ptrIS9_EEEEPSA_mNS6_4lessIS9_EEEE10hipError_tT0_T1_T2_jT3_P12ihipStream_tbPNSt15iterator_traitsISM_E10value_typeEPNSS_ISN_E10value_typeEPSO_NS1_7vsmem_tEENKUlT_SM_SN_SO_E_clIPS9_SH_SI_SI_EESL_S11_SM_SN_SO_EUlS11_E1_NS1_11comp_targetILNS1_3genE10ELNS1_11target_archE1201ELNS1_3gpuE5ELNS1_3repE0EEENS1_36merge_oddeven_config_static_selectorELNS0_4arch9wavefront6targetE1EEEvSN_, .Lfunc_end44-_ZN7rocprim17ROCPRIM_400000_NS6detail17trampoline_kernelINS0_14default_configENS1_38merge_sort_block_merge_config_selectorIN6thrust23THRUST_200600_302600_NS5tupleIffNS6_9null_typeES8_S8_S8_S8_S8_S8_S8_EENS0_10empty_typeEEEZZNS1_27merge_sort_block_merge_implIS3_NS6_6detail15normal_iteratorINS6_10device_ptrIS9_EEEEPSA_mNS6_4lessIS9_EEEE10hipError_tT0_T1_T2_jT3_P12ihipStream_tbPNSt15iterator_traitsISM_E10value_typeEPNSS_ISN_E10value_typeEPSO_NS1_7vsmem_tEENKUlT_SM_SN_SO_E_clIPS9_SH_SI_SI_EESL_S11_SM_SN_SO_EUlS11_E1_NS1_11comp_targetILNS1_3genE10ELNS1_11target_archE1201ELNS1_3gpuE5ELNS1_3repE0EEENS1_36merge_oddeven_config_static_selectorELNS0_4arch9wavefront6targetE1EEEvSN_
                                        ; -- End function
	.section	.AMDGPU.csdata,"",@progbits
; Kernel info:
; codeLenInByte = 0
; NumSgprs: 6
; NumVgprs: 0
; NumAgprs: 0
; TotalNumVgprs: 0
; ScratchSize: 0
; MemoryBound: 0
; FloatMode: 240
; IeeeMode: 1
; LDSByteSize: 0 bytes/workgroup (compile time only)
; SGPRBlocks: 0
; VGPRBlocks: 0
; NumSGPRsForWavesPerEU: 6
; NumVGPRsForWavesPerEU: 1
; AccumOffset: 4
; Occupancy: 8
; WaveLimiterHint : 0
; COMPUTE_PGM_RSRC2:SCRATCH_EN: 0
; COMPUTE_PGM_RSRC2:USER_SGPR: 2
; COMPUTE_PGM_RSRC2:TRAP_HANDLER: 0
; COMPUTE_PGM_RSRC2:TGID_X_EN: 1
; COMPUTE_PGM_RSRC2:TGID_Y_EN: 0
; COMPUTE_PGM_RSRC2:TGID_Z_EN: 0
; COMPUTE_PGM_RSRC2:TIDIG_COMP_CNT: 0
; COMPUTE_PGM_RSRC3_GFX90A:ACCUM_OFFSET: 0
; COMPUTE_PGM_RSRC3_GFX90A:TG_SPLIT: 0
	.section	.text._ZN7rocprim17ROCPRIM_400000_NS6detail17trampoline_kernelINS0_14default_configENS1_38merge_sort_block_merge_config_selectorIN6thrust23THRUST_200600_302600_NS5tupleIffNS6_9null_typeES8_S8_S8_S8_S8_S8_S8_EENS0_10empty_typeEEEZZNS1_27merge_sort_block_merge_implIS3_NS6_6detail15normal_iteratorINS6_10device_ptrIS9_EEEEPSA_mNS6_4lessIS9_EEEE10hipError_tT0_T1_T2_jT3_P12ihipStream_tbPNSt15iterator_traitsISM_E10value_typeEPNSS_ISN_E10value_typeEPSO_NS1_7vsmem_tEENKUlT_SM_SN_SO_E_clIPS9_SH_SI_SI_EESL_S11_SM_SN_SO_EUlS11_E1_NS1_11comp_targetILNS1_3genE5ELNS1_11target_archE942ELNS1_3gpuE9ELNS1_3repE0EEENS1_36merge_oddeven_config_static_selectorELNS0_4arch9wavefront6targetE1EEEvSN_,"axG",@progbits,_ZN7rocprim17ROCPRIM_400000_NS6detail17trampoline_kernelINS0_14default_configENS1_38merge_sort_block_merge_config_selectorIN6thrust23THRUST_200600_302600_NS5tupleIffNS6_9null_typeES8_S8_S8_S8_S8_S8_S8_EENS0_10empty_typeEEEZZNS1_27merge_sort_block_merge_implIS3_NS6_6detail15normal_iteratorINS6_10device_ptrIS9_EEEEPSA_mNS6_4lessIS9_EEEE10hipError_tT0_T1_T2_jT3_P12ihipStream_tbPNSt15iterator_traitsISM_E10value_typeEPNSS_ISN_E10value_typeEPSO_NS1_7vsmem_tEENKUlT_SM_SN_SO_E_clIPS9_SH_SI_SI_EESL_S11_SM_SN_SO_EUlS11_E1_NS1_11comp_targetILNS1_3genE5ELNS1_11target_archE942ELNS1_3gpuE9ELNS1_3repE0EEENS1_36merge_oddeven_config_static_selectorELNS0_4arch9wavefront6targetE1EEEvSN_,comdat
	.protected	_ZN7rocprim17ROCPRIM_400000_NS6detail17trampoline_kernelINS0_14default_configENS1_38merge_sort_block_merge_config_selectorIN6thrust23THRUST_200600_302600_NS5tupleIffNS6_9null_typeES8_S8_S8_S8_S8_S8_S8_EENS0_10empty_typeEEEZZNS1_27merge_sort_block_merge_implIS3_NS6_6detail15normal_iteratorINS6_10device_ptrIS9_EEEEPSA_mNS6_4lessIS9_EEEE10hipError_tT0_T1_T2_jT3_P12ihipStream_tbPNSt15iterator_traitsISM_E10value_typeEPNSS_ISN_E10value_typeEPSO_NS1_7vsmem_tEENKUlT_SM_SN_SO_E_clIPS9_SH_SI_SI_EESL_S11_SM_SN_SO_EUlS11_E1_NS1_11comp_targetILNS1_3genE5ELNS1_11target_archE942ELNS1_3gpuE9ELNS1_3repE0EEENS1_36merge_oddeven_config_static_selectorELNS0_4arch9wavefront6targetE1EEEvSN_ ; -- Begin function _ZN7rocprim17ROCPRIM_400000_NS6detail17trampoline_kernelINS0_14default_configENS1_38merge_sort_block_merge_config_selectorIN6thrust23THRUST_200600_302600_NS5tupleIffNS6_9null_typeES8_S8_S8_S8_S8_S8_S8_EENS0_10empty_typeEEEZZNS1_27merge_sort_block_merge_implIS3_NS6_6detail15normal_iteratorINS6_10device_ptrIS9_EEEEPSA_mNS6_4lessIS9_EEEE10hipError_tT0_T1_T2_jT3_P12ihipStream_tbPNSt15iterator_traitsISM_E10value_typeEPNSS_ISN_E10value_typeEPSO_NS1_7vsmem_tEENKUlT_SM_SN_SO_E_clIPS9_SH_SI_SI_EESL_S11_SM_SN_SO_EUlS11_E1_NS1_11comp_targetILNS1_3genE5ELNS1_11target_archE942ELNS1_3gpuE9ELNS1_3repE0EEENS1_36merge_oddeven_config_static_selectorELNS0_4arch9wavefront6targetE1EEEvSN_
	.globl	_ZN7rocprim17ROCPRIM_400000_NS6detail17trampoline_kernelINS0_14default_configENS1_38merge_sort_block_merge_config_selectorIN6thrust23THRUST_200600_302600_NS5tupleIffNS6_9null_typeES8_S8_S8_S8_S8_S8_S8_EENS0_10empty_typeEEEZZNS1_27merge_sort_block_merge_implIS3_NS6_6detail15normal_iteratorINS6_10device_ptrIS9_EEEEPSA_mNS6_4lessIS9_EEEE10hipError_tT0_T1_T2_jT3_P12ihipStream_tbPNSt15iterator_traitsISM_E10value_typeEPNSS_ISN_E10value_typeEPSO_NS1_7vsmem_tEENKUlT_SM_SN_SO_E_clIPS9_SH_SI_SI_EESL_S11_SM_SN_SO_EUlS11_E1_NS1_11comp_targetILNS1_3genE5ELNS1_11target_archE942ELNS1_3gpuE9ELNS1_3repE0EEENS1_36merge_oddeven_config_static_selectorELNS0_4arch9wavefront6targetE1EEEvSN_
	.p2align	8
	.type	_ZN7rocprim17ROCPRIM_400000_NS6detail17trampoline_kernelINS0_14default_configENS1_38merge_sort_block_merge_config_selectorIN6thrust23THRUST_200600_302600_NS5tupleIffNS6_9null_typeES8_S8_S8_S8_S8_S8_S8_EENS0_10empty_typeEEEZZNS1_27merge_sort_block_merge_implIS3_NS6_6detail15normal_iteratorINS6_10device_ptrIS9_EEEEPSA_mNS6_4lessIS9_EEEE10hipError_tT0_T1_T2_jT3_P12ihipStream_tbPNSt15iterator_traitsISM_E10value_typeEPNSS_ISN_E10value_typeEPSO_NS1_7vsmem_tEENKUlT_SM_SN_SO_E_clIPS9_SH_SI_SI_EESL_S11_SM_SN_SO_EUlS11_E1_NS1_11comp_targetILNS1_3genE5ELNS1_11target_archE942ELNS1_3gpuE9ELNS1_3repE0EEENS1_36merge_oddeven_config_static_selectorELNS0_4arch9wavefront6targetE1EEEvSN_,@function
_ZN7rocprim17ROCPRIM_400000_NS6detail17trampoline_kernelINS0_14default_configENS1_38merge_sort_block_merge_config_selectorIN6thrust23THRUST_200600_302600_NS5tupleIffNS6_9null_typeES8_S8_S8_S8_S8_S8_S8_EENS0_10empty_typeEEEZZNS1_27merge_sort_block_merge_implIS3_NS6_6detail15normal_iteratorINS6_10device_ptrIS9_EEEEPSA_mNS6_4lessIS9_EEEE10hipError_tT0_T1_T2_jT3_P12ihipStream_tbPNSt15iterator_traitsISM_E10value_typeEPNSS_ISN_E10value_typeEPSO_NS1_7vsmem_tEENKUlT_SM_SN_SO_E_clIPS9_SH_SI_SI_EESL_S11_SM_SN_SO_EUlS11_E1_NS1_11comp_targetILNS1_3genE5ELNS1_11target_archE942ELNS1_3gpuE9ELNS1_3repE0EEENS1_36merge_oddeven_config_static_selectorELNS0_4arch9wavefront6targetE1EEEvSN_: ; @_ZN7rocprim17ROCPRIM_400000_NS6detail17trampoline_kernelINS0_14default_configENS1_38merge_sort_block_merge_config_selectorIN6thrust23THRUST_200600_302600_NS5tupleIffNS6_9null_typeES8_S8_S8_S8_S8_S8_S8_EENS0_10empty_typeEEEZZNS1_27merge_sort_block_merge_implIS3_NS6_6detail15normal_iteratorINS6_10device_ptrIS9_EEEEPSA_mNS6_4lessIS9_EEEE10hipError_tT0_T1_T2_jT3_P12ihipStream_tbPNSt15iterator_traitsISM_E10value_typeEPNSS_ISN_E10value_typeEPSO_NS1_7vsmem_tEENKUlT_SM_SN_SO_E_clIPS9_SH_SI_SI_EESL_S11_SM_SN_SO_EUlS11_E1_NS1_11comp_targetILNS1_3genE5ELNS1_11target_archE942ELNS1_3gpuE9ELNS1_3repE0EEENS1_36merge_oddeven_config_static_selectorELNS0_4arch9wavefront6targetE1EEEvSN_
; %bb.0:
	s_load_dword s16, s[0:1], 0x20
	s_lshl_b32 s6, s2, 8
	s_waitcnt lgkmcnt(0)
	s_lshr_b32 s3, s16, 8
	s_cmp_lg_u32 s2, s3
	s_cselect_b64 s[8:9], -1, 0
	s_cmp_eq_u32 s2, s3
	s_cselect_b64 s[12:13], -1, 0
	s_sub_i32 s3, s16, s6
	v_cmp_gt_u32_e64 s[4:5], s3, v0
	s_or_b64 s[8:9], s[8:9], s[4:5]
	s_and_saveexec_b64 s[10:11], s[8:9]
	s_cbranch_execz .LBB45_50
; %bb.1:
	s_load_dwordx4 s[8:11], s[0:1], 0x0
	s_load_dword s17, s[0:1], 0x28
	s_mov_b32 s7, 0
	s_lshl_b64 s[0:1], s[6:7], 3
	v_lshlrev_b32_e32 v1, 3, v0
	s_waitcnt lgkmcnt(0)
	s_add_u32 s0, s8, s0
	s_addc_u32 s1, s9, s1
	global_load_dwordx2 v[2:3], v1, s[0:1]
	s_lshr_b32 s0, s17, 8
	s_sub_i32 s1, 0, s0
	s_and_b32 s1, s2, s1
	s_and_b32 s0, s1, s0
	s_cmp_lg_u32 s0, 0
	s_cselect_b64 s[2:3], -1, 0
	s_lshl_b32 s18, s1, 8
	s_sub_i32 s1, 0, s17
	s_cmp_eq_u32 s0, 0
	s_cselect_b32 s20, s17, s1
	s_add_i32 s20, s20, s18
	s_cmp_lt_u32 s20, s16
	v_add_u32_e32 v4, s6, v0
	s_cbranch_scc1 .LBB45_6
; %bb.2:
	s_and_b64 vcc, exec, s[12:13]
	s_cbranch_vccz .LBB45_7
; %bb.3:
	v_cmp_gt_u32_e32 vcc, s16, v4
	s_mov_b64 s[0:1], 0
	s_mov_b64 s[6:7], 0
                                        ; implicit-def: $vgpr0_vgpr1
	s_and_saveexec_b64 s[14:15], vcc
	s_cbranch_execz .LBB45_5
; %bb.4:
	v_mov_b32_e32 v5, 0
	v_lshl_add_u64 v[6:7], v[4:5], 3, s[10:11]
	s_mov_b64 s[6:7], exec
	v_lshl_add_u64 v[0:1], v[6:7], 0, 4
	s_waitcnt vmcnt(0)
	global_store_dword v[6:7], v2, off
.LBB45_5:
	s_or_b64 exec, exec, s[14:15]
	s_and_b64 vcc, exec, s[0:1]
	s_cbranch_vccnz .LBB45_8
	s_branch .LBB45_9
.LBB45_6:
	s_mov_b64 s[6:7], 0
                                        ; implicit-def: $vgpr0_vgpr1
	s_cbranch_execnz .LBB45_10
	s_branch .LBB45_48
.LBB45_7:
	s_mov_b64 s[6:7], 0
                                        ; implicit-def: $vgpr0_vgpr1
	s_cbranch_execz .LBB45_9
.LBB45_8:
	v_mov_b32_e32 v5, 0
	v_lshl_add_u64 v[0:1], v[4:5], 3, s[10:11]
	s_waitcnt vmcnt(0)
	global_store_dword v[0:1], v2, off
	v_lshl_add_u64 v[0:1], v[0:1], 0, 4
	s_or_b64 s[6:7], s[6:7], exec
.LBB45_9:
	s_branch .LBB45_48
.LBB45_10:
	s_min_u32 s21, s20, s16
	s_add_i32 s0, s21, s17
	s_min_u32 s22, s0, s16
	s_min_u32 s0, s18, s21
	s_add_i32 s18, s18, s21
	v_subrev_u32_e32 v0, s18, v4
	v_add_u32_e32 v6, s0, v0
	s_and_b64 vcc, exec, s[12:13]
	s_cbranch_vccz .LBB45_27
; %bb.11:
                                        ; implicit-def: $vgpr0_vgpr1
	s_and_saveexec_b64 s[12:13], s[4:5]
	s_cbranch_execz .LBB45_30
; %bb.12:
	s_cmp_ge_u32 s20, s22
	v_mov_b32_e32 v7, s21
	s_cbranch_scc1 .LBB45_29
; %bb.13:
	v_cndmask_b32_e64 v0, 0, 1, s[2:3]
	s_mov_b64 s[4:5], 0
	v_mov_b32_e32 v8, s22
	v_mov_b32_e32 v7, s21
	;; [unrolled: 1-line block ×3, first 2 shown]
	v_cmp_ne_u32_e64 s[0:1], 1, v0
	s_branch .LBB45_17
.LBB45_14:                              ;   in Loop: Header=BB45_17 Depth=1
	s_or_b64 exec, exec, s[18:19]
	s_orn2_b64 s[14:15], s[14:15], exec
.LBB45_15:                              ;   in Loop: Header=BB45_17 Depth=1
	s_or_b64 exec, exec, s[16:17]
.LBB45_16:                              ;   in Loop: Header=BB45_17 Depth=1
	s_waitcnt vmcnt(0)
	v_add_u32_e32 v4, 1, v0
	v_cndmask_b32_e64 v8, v0, v8, s[14:15]
	v_cndmask_b32_e64 v7, v7, v4, s[14:15]
	v_cmp_ge_u32_e32 vcc, v7, v8
	s_or_b64 s[4:5], vcc, s[4:5]
	s_andn2_b64 exec, exec, s[4:5]
	s_cbranch_execz .LBB45_28
.LBB45_17:                              ; =>This Inner Loop Header: Depth=1
	v_add_u32_e32 v0, v7, v8
	v_lshrrev_b32_e32 v0, 1, v0
	v_lshl_add_u64 v[4:5], v[0:1], 3, s[8:9]
	global_load_dwordx2 v[4:5], v[4:5], off
	s_and_b64 vcc, exec, s[0:1]
	s_mov_b64 s[16:17], -1
                                        ; implicit-def: $sgpr14_sgpr15
	s_cbranch_vccnz .LBB45_23
; %bb.18:                               ;   in Loop: Header=BB45_17 Depth=1
	s_waitcnt vmcnt(0)
	v_cmp_nlt_f32_e32 vcc, v2, v4
	s_and_saveexec_b64 s[14:15], vcc
	s_cbranch_execz .LBB45_22
; %bb.19:                               ;   in Loop: Header=BB45_17 Depth=1
	v_cmp_nlt_f32_e32 vcc, v4, v2
	s_mov_b64 s[16:17], 0
	s_and_saveexec_b64 s[18:19], vcc
; %bb.20:                               ;   in Loop: Header=BB45_17 Depth=1
	v_cmp_lt_f32_e32 vcc, v3, v5
	s_and_b64 s[16:17], vcc, exec
; %bb.21:                               ;   in Loop: Header=BB45_17 Depth=1
	s_or_b64 exec, exec, s[18:19]
	s_orn2_b64 s[16:17], s[16:17], exec
.LBB45_22:                              ;   in Loop: Header=BB45_17 Depth=1
	s_or_b64 exec, exec, s[14:15]
	s_xor_b64 s[14:15], s[16:17], -1
	s_mov_b64 s[16:17], 0
.LBB45_23:                              ;   in Loop: Header=BB45_17 Depth=1
	s_and_b64 vcc, exec, s[16:17]
	s_cbranch_vccz .LBB45_16
; %bb.24:                               ;   in Loop: Header=BB45_17 Depth=1
	s_waitcnt vmcnt(0)
	v_cmp_nlt_f32_e32 vcc, v4, v2
	s_mov_b64 s[14:15], -1
	s_and_saveexec_b64 s[16:17], vcc
	s_cbranch_execz .LBB45_15
; %bb.25:                               ;   in Loop: Header=BB45_17 Depth=1
	v_cmp_nlt_f32_e32 vcc, v2, v4
	s_mov_b64 s[14:15], 0
	s_and_saveexec_b64 s[18:19], vcc
	s_cbranch_execz .LBB45_14
; %bb.26:                               ;   in Loop: Header=BB45_17 Depth=1
	v_cmp_lt_f32_e32 vcc, v5, v3
	s_and_b64 s[14:15], vcc, exec
	s_branch .LBB45_14
.LBB45_27:
                                        ; implicit-def: $vgpr0_vgpr1
	s_cbranch_execnz .LBB45_31
	s_branch .LBB45_48
.LBB45_28:
	s_or_b64 exec, exec, s[4:5]
.LBB45_29:
	v_add_u32_e32 v0, v7, v6
	v_mov_b32_e32 v1, 0
	v_lshl_add_u64 v[0:1], v[0:1], 3, s[10:11]
	s_waitcnt vmcnt(0)
	global_store_dword v[0:1], v2, off
	v_lshl_add_u64 v[0:1], v[0:1], 0, 4
	s_or_b64 s[6:7], s[6:7], exec
.LBB45_30:
	s_or_b64 exec, exec, s[12:13]
	s_branch .LBB45_48
.LBB45_31:
	s_cmp_ge_u32 s20, s22
	v_mov_b32_e32 v7, s21
	s_cbranch_scc1 .LBB45_47
; %bb.32:
	v_cndmask_b32_e64 v0, 0, 1, s[2:3]
	s_mov_b64 s[4:5], 0
	v_mov_b32_e32 v8, s22
	v_mov_b32_e32 v7, s21
	;; [unrolled: 1-line block ×3, first 2 shown]
	v_cmp_ne_u32_e64 s[0:1], 1, v0
	s_branch .LBB45_36
.LBB45_33:                              ;   in Loop: Header=BB45_36 Depth=1
	s_or_b64 exec, exec, s[12:13]
	s_orn2_b64 s[2:3], s[2:3], exec
.LBB45_34:                              ;   in Loop: Header=BB45_36 Depth=1
	s_or_b64 exec, exec, s[6:7]
.LBB45_35:                              ;   in Loop: Header=BB45_36 Depth=1
	s_waitcnt vmcnt(0)
	v_add_u32_e32 v4, 1, v0
	v_cndmask_b32_e64 v8, v0, v8, s[2:3]
	v_cndmask_b32_e64 v7, v7, v4, s[2:3]
	v_cmp_ge_u32_e32 vcc, v7, v8
	s_or_b64 s[4:5], vcc, s[4:5]
	s_andn2_b64 exec, exec, s[4:5]
	s_cbranch_execz .LBB45_46
.LBB45_36:                              ; =>This Inner Loop Header: Depth=1
	v_add_u32_e32 v0, v7, v8
	v_lshrrev_b32_e32 v0, 1, v0
	v_lshl_add_u64 v[4:5], v[0:1], 3, s[8:9]
	global_load_dwordx2 v[4:5], v[4:5], off
	s_and_b64 vcc, exec, s[0:1]
	s_mov_b64 s[6:7], -1
                                        ; implicit-def: $sgpr2_sgpr3
	s_cbranch_vccnz .LBB45_42
; %bb.37:                               ;   in Loop: Header=BB45_36 Depth=1
	s_waitcnt vmcnt(0)
	v_cmp_nlt_f32_e32 vcc, v2, v4
	s_and_saveexec_b64 s[2:3], vcc
	s_cbranch_execz .LBB45_41
; %bb.38:                               ;   in Loop: Header=BB45_36 Depth=1
	v_cmp_nlt_f32_e32 vcc, v4, v2
	s_mov_b64 s[6:7], 0
	s_and_saveexec_b64 s[12:13], vcc
; %bb.39:                               ;   in Loop: Header=BB45_36 Depth=1
	v_cmp_lt_f32_e32 vcc, v3, v5
	s_and_b64 s[6:7], vcc, exec
; %bb.40:                               ;   in Loop: Header=BB45_36 Depth=1
	s_or_b64 exec, exec, s[12:13]
	s_orn2_b64 s[6:7], s[6:7], exec
.LBB45_41:                              ;   in Loop: Header=BB45_36 Depth=1
	s_or_b64 exec, exec, s[2:3]
	s_xor_b64 s[2:3], s[6:7], -1
	s_mov_b64 s[6:7], 0
.LBB45_42:                              ;   in Loop: Header=BB45_36 Depth=1
	s_and_b64 vcc, exec, s[6:7]
	s_cbranch_vccz .LBB45_35
; %bb.43:                               ;   in Loop: Header=BB45_36 Depth=1
	s_waitcnt vmcnt(0)
	v_cmp_nlt_f32_e32 vcc, v4, v2
	s_mov_b64 s[2:3], -1
	s_and_saveexec_b64 s[6:7], vcc
	s_cbranch_execz .LBB45_34
; %bb.44:                               ;   in Loop: Header=BB45_36 Depth=1
	v_cmp_nlt_f32_e32 vcc, v2, v4
	s_mov_b64 s[2:3], 0
	s_and_saveexec_b64 s[12:13], vcc
	s_cbranch_execz .LBB45_33
; %bb.45:                               ;   in Loop: Header=BB45_36 Depth=1
	v_cmp_lt_f32_e32 vcc, v5, v3
	s_and_b64 s[2:3], vcc, exec
	s_branch .LBB45_33
.LBB45_46:
	s_or_b64 exec, exec, s[4:5]
.LBB45_47:
	v_add_u32_e32 v0, v7, v6
	v_mov_b32_e32 v1, 0
	v_lshl_add_u64 v[0:1], v[0:1], 3, s[10:11]
	s_waitcnt vmcnt(0)
	global_store_dword v[0:1], v2, off
	v_lshl_add_u64 v[0:1], v[0:1], 0, 4
	s_mov_b64 s[6:7], -1
.LBB45_48:
	s_and_b64 exec, exec, s[6:7]
	s_cbranch_execz .LBB45_50
; %bb.49:
	s_waitcnt vmcnt(0)
	global_store_dword v[0:1], v3, off
.LBB45_50:
	s_endpgm
	.section	.rodata,"a",@progbits
	.p2align	6, 0x0
	.amdhsa_kernel _ZN7rocprim17ROCPRIM_400000_NS6detail17trampoline_kernelINS0_14default_configENS1_38merge_sort_block_merge_config_selectorIN6thrust23THRUST_200600_302600_NS5tupleIffNS6_9null_typeES8_S8_S8_S8_S8_S8_S8_EENS0_10empty_typeEEEZZNS1_27merge_sort_block_merge_implIS3_NS6_6detail15normal_iteratorINS6_10device_ptrIS9_EEEEPSA_mNS6_4lessIS9_EEEE10hipError_tT0_T1_T2_jT3_P12ihipStream_tbPNSt15iterator_traitsISM_E10value_typeEPNSS_ISN_E10value_typeEPSO_NS1_7vsmem_tEENKUlT_SM_SN_SO_E_clIPS9_SH_SI_SI_EESL_S11_SM_SN_SO_EUlS11_E1_NS1_11comp_targetILNS1_3genE5ELNS1_11target_archE942ELNS1_3gpuE9ELNS1_3repE0EEENS1_36merge_oddeven_config_static_selectorELNS0_4arch9wavefront6targetE1EEEvSN_
		.amdhsa_group_segment_fixed_size 0
		.amdhsa_private_segment_fixed_size 0
		.amdhsa_kernarg_size 56
		.amdhsa_user_sgpr_count 2
		.amdhsa_user_sgpr_dispatch_ptr 0
		.amdhsa_user_sgpr_queue_ptr 0
		.amdhsa_user_sgpr_kernarg_segment_ptr 1
		.amdhsa_user_sgpr_dispatch_id 0
		.amdhsa_user_sgpr_kernarg_preload_length 0
		.amdhsa_user_sgpr_kernarg_preload_offset 0
		.amdhsa_user_sgpr_private_segment_size 0
		.amdhsa_uses_dynamic_stack 0
		.amdhsa_enable_private_segment 0
		.amdhsa_system_sgpr_workgroup_id_x 1
		.amdhsa_system_sgpr_workgroup_id_y 0
		.amdhsa_system_sgpr_workgroup_id_z 0
		.amdhsa_system_sgpr_workgroup_info 0
		.amdhsa_system_vgpr_workitem_id 0
		.amdhsa_next_free_vgpr 9
		.amdhsa_next_free_sgpr 23
		.amdhsa_accum_offset 12
		.amdhsa_reserve_vcc 1
		.amdhsa_float_round_mode_32 0
		.amdhsa_float_round_mode_16_64 0
		.amdhsa_float_denorm_mode_32 3
		.amdhsa_float_denorm_mode_16_64 3
		.amdhsa_dx10_clamp 1
		.amdhsa_ieee_mode 1
		.amdhsa_fp16_overflow 0
		.amdhsa_tg_split 0
		.amdhsa_exception_fp_ieee_invalid_op 0
		.amdhsa_exception_fp_denorm_src 0
		.amdhsa_exception_fp_ieee_div_zero 0
		.amdhsa_exception_fp_ieee_overflow 0
		.amdhsa_exception_fp_ieee_underflow 0
		.amdhsa_exception_fp_ieee_inexact 0
		.amdhsa_exception_int_div_zero 0
	.end_amdhsa_kernel
	.section	.text._ZN7rocprim17ROCPRIM_400000_NS6detail17trampoline_kernelINS0_14default_configENS1_38merge_sort_block_merge_config_selectorIN6thrust23THRUST_200600_302600_NS5tupleIffNS6_9null_typeES8_S8_S8_S8_S8_S8_S8_EENS0_10empty_typeEEEZZNS1_27merge_sort_block_merge_implIS3_NS6_6detail15normal_iteratorINS6_10device_ptrIS9_EEEEPSA_mNS6_4lessIS9_EEEE10hipError_tT0_T1_T2_jT3_P12ihipStream_tbPNSt15iterator_traitsISM_E10value_typeEPNSS_ISN_E10value_typeEPSO_NS1_7vsmem_tEENKUlT_SM_SN_SO_E_clIPS9_SH_SI_SI_EESL_S11_SM_SN_SO_EUlS11_E1_NS1_11comp_targetILNS1_3genE5ELNS1_11target_archE942ELNS1_3gpuE9ELNS1_3repE0EEENS1_36merge_oddeven_config_static_selectorELNS0_4arch9wavefront6targetE1EEEvSN_,"axG",@progbits,_ZN7rocprim17ROCPRIM_400000_NS6detail17trampoline_kernelINS0_14default_configENS1_38merge_sort_block_merge_config_selectorIN6thrust23THRUST_200600_302600_NS5tupleIffNS6_9null_typeES8_S8_S8_S8_S8_S8_S8_EENS0_10empty_typeEEEZZNS1_27merge_sort_block_merge_implIS3_NS6_6detail15normal_iteratorINS6_10device_ptrIS9_EEEEPSA_mNS6_4lessIS9_EEEE10hipError_tT0_T1_T2_jT3_P12ihipStream_tbPNSt15iterator_traitsISM_E10value_typeEPNSS_ISN_E10value_typeEPSO_NS1_7vsmem_tEENKUlT_SM_SN_SO_E_clIPS9_SH_SI_SI_EESL_S11_SM_SN_SO_EUlS11_E1_NS1_11comp_targetILNS1_3genE5ELNS1_11target_archE942ELNS1_3gpuE9ELNS1_3repE0EEENS1_36merge_oddeven_config_static_selectorELNS0_4arch9wavefront6targetE1EEEvSN_,comdat
.Lfunc_end45:
	.size	_ZN7rocprim17ROCPRIM_400000_NS6detail17trampoline_kernelINS0_14default_configENS1_38merge_sort_block_merge_config_selectorIN6thrust23THRUST_200600_302600_NS5tupleIffNS6_9null_typeES8_S8_S8_S8_S8_S8_S8_EENS0_10empty_typeEEEZZNS1_27merge_sort_block_merge_implIS3_NS6_6detail15normal_iteratorINS6_10device_ptrIS9_EEEEPSA_mNS6_4lessIS9_EEEE10hipError_tT0_T1_T2_jT3_P12ihipStream_tbPNSt15iterator_traitsISM_E10value_typeEPNSS_ISN_E10value_typeEPSO_NS1_7vsmem_tEENKUlT_SM_SN_SO_E_clIPS9_SH_SI_SI_EESL_S11_SM_SN_SO_EUlS11_E1_NS1_11comp_targetILNS1_3genE5ELNS1_11target_archE942ELNS1_3gpuE9ELNS1_3repE0EEENS1_36merge_oddeven_config_static_selectorELNS0_4arch9wavefront6targetE1EEEvSN_, .Lfunc_end45-_ZN7rocprim17ROCPRIM_400000_NS6detail17trampoline_kernelINS0_14default_configENS1_38merge_sort_block_merge_config_selectorIN6thrust23THRUST_200600_302600_NS5tupleIffNS6_9null_typeES8_S8_S8_S8_S8_S8_S8_EENS0_10empty_typeEEEZZNS1_27merge_sort_block_merge_implIS3_NS6_6detail15normal_iteratorINS6_10device_ptrIS9_EEEEPSA_mNS6_4lessIS9_EEEE10hipError_tT0_T1_T2_jT3_P12ihipStream_tbPNSt15iterator_traitsISM_E10value_typeEPNSS_ISN_E10value_typeEPSO_NS1_7vsmem_tEENKUlT_SM_SN_SO_E_clIPS9_SH_SI_SI_EESL_S11_SM_SN_SO_EUlS11_E1_NS1_11comp_targetILNS1_3genE5ELNS1_11target_archE942ELNS1_3gpuE9ELNS1_3repE0EEENS1_36merge_oddeven_config_static_selectorELNS0_4arch9wavefront6targetE1EEEvSN_
                                        ; -- End function
	.section	.AMDGPU.csdata,"",@progbits
; Kernel info:
; codeLenInByte = 972
; NumSgprs: 29
; NumVgprs: 9
; NumAgprs: 0
; TotalNumVgprs: 9
; ScratchSize: 0
; MemoryBound: 0
; FloatMode: 240
; IeeeMode: 1
; LDSByteSize: 0 bytes/workgroup (compile time only)
; SGPRBlocks: 3
; VGPRBlocks: 1
; NumSGPRsForWavesPerEU: 29
; NumVGPRsForWavesPerEU: 9
; AccumOffset: 12
; Occupancy: 8
; WaveLimiterHint : 0
; COMPUTE_PGM_RSRC2:SCRATCH_EN: 0
; COMPUTE_PGM_RSRC2:USER_SGPR: 2
; COMPUTE_PGM_RSRC2:TRAP_HANDLER: 0
; COMPUTE_PGM_RSRC2:TGID_X_EN: 1
; COMPUTE_PGM_RSRC2:TGID_Y_EN: 0
; COMPUTE_PGM_RSRC2:TGID_Z_EN: 0
; COMPUTE_PGM_RSRC2:TIDIG_COMP_CNT: 0
; COMPUTE_PGM_RSRC3_GFX90A:ACCUM_OFFSET: 2
; COMPUTE_PGM_RSRC3_GFX90A:TG_SPLIT: 0
	.section	.text._ZN7rocprim17ROCPRIM_400000_NS6detail17trampoline_kernelINS0_14default_configENS1_38merge_sort_block_merge_config_selectorIN6thrust23THRUST_200600_302600_NS5tupleIffNS6_9null_typeES8_S8_S8_S8_S8_S8_S8_EENS0_10empty_typeEEEZZNS1_27merge_sort_block_merge_implIS3_NS6_6detail15normal_iteratorINS6_10device_ptrIS9_EEEEPSA_mNS6_4lessIS9_EEEE10hipError_tT0_T1_T2_jT3_P12ihipStream_tbPNSt15iterator_traitsISM_E10value_typeEPNSS_ISN_E10value_typeEPSO_NS1_7vsmem_tEENKUlT_SM_SN_SO_E_clIPS9_SH_SI_SI_EESL_S11_SM_SN_SO_EUlS11_E1_NS1_11comp_targetILNS1_3genE4ELNS1_11target_archE910ELNS1_3gpuE8ELNS1_3repE0EEENS1_36merge_oddeven_config_static_selectorELNS0_4arch9wavefront6targetE1EEEvSN_,"axG",@progbits,_ZN7rocprim17ROCPRIM_400000_NS6detail17trampoline_kernelINS0_14default_configENS1_38merge_sort_block_merge_config_selectorIN6thrust23THRUST_200600_302600_NS5tupleIffNS6_9null_typeES8_S8_S8_S8_S8_S8_S8_EENS0_10empty_typeEEEZZNS1_27merge_sort_block_merge_implIS3_NS6_6detail15normal_iteratorINS6_10device_ptrIS9_EEEEPSA_mNS6_4lessIS9_EEEE10hipError_tT0_T1_T2_jT3_P12ihipStream_tbPNSt15iterator_traitsISM_E10value_typeEPNSS_ISN_E10value_typeEPSO_NS1_7vsmem_tEENKUlT_SM_SN_SO_E_clIPS9_SH_SI_SI_EESL_S11_SM_SN_SO_EUlS11_E1_NS1_11comp_targetILNS1_3genE4ELNS1_11target_archE910ELNS1_3gpuE8ELNS1_3repE0EEENS1_36merge_oddeven_config_static_selectorELNS0_4arch9wavefront6targetE1EEEvSN_,comdat
	.protected	_ZN7rocprim17ROCPRIM_400000_NS6detail17trampoline_kernelINS0_14default_configENS1_38merge_sort_block_merge_config_selectorIN6thrust23THRUST_200600_302600_NS5tupleIffNS6_9null_typeES8_S8_S8_S8_S8_S8_S8_EENS0_10empty_typeEEEZZNS1_27merge_sort_block_merge_implIS3_NS6_6detail15normal_iteratorINS6_10device_ptrIS9_EEEEPSA_mNS6_4lessIS9_EEEE10hipError_tT0_T1_T2_jT3_P12ihipStream_tbPNSt15iterator_traitsISM_E10value_typeEPNSS_ISN_E10value_typeEPSO_NS1_7vsmem_tEENKUlT_SM_SN_SO_E_clIPS9_SH_SI_SI_EESL_S11_SM_SN_SO_EUlS11_E1_NS1_11comp_targetILNS1_3genE4ELNS1_11target_archE910ELNS1_3gpuE8ELNS1_3repE0EEENS1_36merge_oddeven_config_static_selectorELNS0_4arch9wavefront6targetE1EEEvSN_ ; -- Begin function _ZN7rocprim17ROCPRIM_400000_NS6detail17trampoline_kernelINS0_14default_configENS1_38merge_sort_block_merge_config_selectorIN6thrust23THRUST_200600_302600_NS5tupleIffNS6_9null_typeES8_S8_S8_S8_S8_S8_S8_EENS0_10empty_typeEEEZZNS1_27merge_sort_block_merge_implIS3_NS6_6detail15normal_iteratorINS6_10device_ptrIS9_EEEEPSA_mNS6_4lessIS9_EEEE10hipError_tT0_T1_T2_jT3_P12ihipStream_tbPNSt15iterator_traitsISM_E10value_typeEPNSS_ISN_E10value_typeEPSO_NS1_7vsmem_tEENKUlT_SM_SN_SO_E_clIPS9_SH_SI_SI_EESL_S11_SM_SN_SO_EUlS11_E1_NS1_11comp_targetILNS1_3genE4ELNS1_11target_archE910ELNS1_3gpuE8ELNS1_3repE0EEENS1_36merge_oddeven_config_static_selectorELNS0_4arch9wavefront6targetE1EEEvSN_
	.globl	_ZN7rocprim17ROCPRIM_400000_NS6detail17trampoline_kernelINS0_14default_configENS1_38merge_sort_block_merge_config_selectorIN6thrust23THRUST_200600_302600_NS5tupleIffNS6_9null_typeES8_S8_S8_S8_S8_S8_S8_EENS0_10empty_typeEEEZZNS1_27merge_sort_block_merge_implIS3_NS6_6detail15normal_iteratorINS6_10device_ptrIS9_EEEEPSA_mNS6_4lessIS9_EEEE10hipError_tT0_T1_T2_jT3_P12ihipStream_tbPNSt15iterator_traitsISM_E10value_typeEPNSS_ISN_E10value_typeEPSO_NS1_7vsmem_tEENKUlT_SM_SN_SO_E_clIPS9_SH_SI_SI_EESL_S11_SM_SN_SO_EUlS11_E1_NS1_11comp_targetILNS1_3genE4ELNS1_11target_archE910ELNS1_3gpuE8ELNS1_3repE0EEENS1_36merge_oddeven_config_static_selectorELNS0_4arch9wavefront6targetE1EEEvSN_
	.p2align	8
	.type	_ZN7rocprim17ROCPRIM_400000_NS6detail17trampoline_kernelINS0_14default_configENS1_38merge_sort_block_merge_config_selectorIN6thrust23THRUST_200600_302600_NS5tupleIffNS6_9null_typeES8_S8_S8_S8_S8_S8_S8_EENS0_10empty_typeEEEZZNS1_27merge_sort_block_merge_implIS3_NS6_6detail15normal_iteratorINS6_10device_ptrIS9_EEEEPSA_mNS6_4lessIS9_EEEE10hipError_tT0_T1_T2_jT3_P12ihipStream_tbPNSt15iterator_traitsISM_E10value_typeEPNSS_ISN_E10value_typeEPSO_NS1_7vsmem_tEENKUlT_SM_SN_SO_E_clIPS9_SH_SI_SI_EESL_S11_SM_SN_SO_EUlS11_E1_NS1_11comp_targetILNS1_3genE4ELNS1_11target_archE910ELNS1_3gpuE8ELNS1_3repE0EEENS1_36merge_oddeven_config_static_selectorELNS0_4arch9wavefront6targetE1EEEvSN_,@function
_ZN7rocprim17ROCPRIM_400000_NS6detail17trampoline_kernelINS0_14default_configENS1_38merge_sort_block_merge_config_selectorIN6thrust23THRUST_200600_302600_NS5tupleIffNS6_9null_typeES8_S8_S8_S8_S8_S8_S8_EENS0_10empty_typeEEEZZNS1_27merge_sort_block_merge_implIS3_NS6_6detail15normal_iteratorINS6_10device_ptrIS9_EEEEPSA_mNS6_4lessIS9_EEEE10hipError_tT0_T1_T2_jT3_P12ihipStream_tbPNSt15iterator_traitsISM_E10value_typeEPNSS_ISN_E10value_typeEPSO_NS1_7vsmem_tEENKUlT_SM_SN_SO_E_clIPS9_SH_SI_SI_EESL_S11_SM_SN_SO_EUlS11_E1_NS1_11comp_targetILNS1_3genE4ELNS1_11target_archE910ELNS1_3gpuE8ELNS1_3repE0EEENS1_36merge_oddeven_config_static_selectorELNS0_4arch9wavefront6targetE1EEEvSN_: ; @_ZN7rocprim17ROCPRIM_400000_NS6detail17trampoline_kernelINS0_14default_configENS1_38merge_sort_block_merge_config_selectorIN6thrust23THRUST_200600_302600_NS5tupleIffNS6_9null_typeES8_S8_S8_S8_S8_S8_S8_EENS0_10empty_typeEEEZZNS1_27merge_sort_block_merge_implIS3_NS6_6detail15normal_iteratorINS6_10device_ptrIS9_EEEEPSA_mNS6_4lessIS9_EEEE10hipError_tT0_T1_T2_jT3_P12ihipStream_tbPNSt15iterator_traitsISM_E10value_typeEPNSS_ISN_E10value_typeEPSO_NS1_7vsmem_tEENKUlT_SM_SN_SO_E_clIPS9_SH_SI_SI_EESL_S11_SM_SN_SO_EUlS11_E1_NS1_11comp_targetILNS1_3genE4ELNS1_11target_archE910ELNS1_3gpuE8ELNS1_3repE0EEENS1_36merge_oddeven_config_static_selectorELNS0_4arch9wavefront6targetE1EEEvSN_
; %bb.0:
	.section	.rodata,"a",@progbits
	.p2align	6, 0x0
	.amdhsa_kernel _ZN7rocprim17ROCPRIM_400000_NS6detail17trampoline_kernelINS0_14default_configENS1_38merge_sort_block_merge_config_selectorIN6thrust23THRUST_200600_302600_NS5tupleIffNS6_9null_typeES8_S8_S8_S8_S8_S8_S8_EENS0_10empty_typeEEEZZNS1_27merge_sort_block_merge_implIS3_NS6_6detail15normal_iteratorINS6_10device_ptrIS9_EEEEPSA_mNS6_4lessIS9_EEEE10hipError_tT0_T1_T2_jT3_P12ihipStream_tbPNSt15iterator_traitsISM_E10value_typeEPNSS_ISN_E10value_typeEPSO_NS1_7vsmem_tEENKUlT_SM_SN_SO_E_clIPS9_SH_SI_SI_EESL_S11_SM_SN_SO_EUlS11_E1_NS1_11comp_targetILNS1_3genE4ELNS1_11target_archE910ELNS1_3gpuE8ELNS1_3repE0EEENS1_36merge_oddeven_config_static_selectorELNS0_4arch9wavefront6targetE1EEEvSN_
		.amdhsa_group_segment_fixed_size 0
		.amdhsa_private_segment_fixed_size 0
		.amdhsa_kernarg_size 56
		.amdhsa_user_sgpr_count 2
		.amdhsa_user_sgpr_dispatch_ptr 0
		.amdhsa_user_sgpr_queue_ptr 0
		.amdhsa_user_sgpr_kernarg_segment_ptr 1
		.amdhsa_user_sgpr_dispatch_id 0
		.amdhsa_user_sgpr_kernarg_preload_length 0
		.amdhsa_user_sgpr_kernarg_preload_offset 0
		.amdhsa_user_sgpr_private_segment_size 0
		.amdhsa_uses_dynamic_stack 0
		.amdhsa_enable_private_segment 0
		.amdhsa_system_sgpr_workgroup_id_x 1
		.amdhsa_system_sgpr_workgroup_id_y 0
		.amdhsa_system_sgpr_workgroup_id_z 0
		.amdhsa_system_sgpr_workgroup_info 0
		.amdhsa_system_vgpr_workitem_id 0
		.amdhsa_next_free_vgpr 1
		.amdhsa_next_free_sgpr 0
		.amdhsa_accum_offset 4
		.amdhsa_reserve_vcc 0
		.amdhsa_float_round_mode_32 0
		.amdhsa_float_round_mode_16_64 0
		.amdhsa_float_denorm_mode_32 3
		.amdhsa_float_denorm_mode_16_64 3
		.amdhsa_dx10_clamp 1
		.amdhsa_ieee_mode 1
		.amdhsa_fp16_overflow 0
		.amdhsa_tg_split 0
		.amdhsa_exception_fp_ieee_invalid_op 0
		.amdhsa_exception_fp_denorm_src 0
		.amdhsa_exception_fp_ieee_div_zero 0
		.amdhsa_exception_fp_ieee_overflow 0
		.amdhsa_exception_fp_ieee_underflow 0
		.amdhsa_exception_fp_ieee_inexact 0
		.amdhsa_exception_int_div_zero 0
	.end_amdhsa_kernel
	.section	.text._ZN7rocprim17ROCPRIM_400000_NS6detail17trampoline_kernelINS0_14default_configENS1_38merge_sort_block_merge_config_selectorIN6thrust23THRUST_200600_302600_NS5tupleIffNS6_9null_typeES8_S8_S8_S8_S8_S8_S8_EENS0_10empty_typeEEEZZNS1_27merge_sort_block_merge_implIS3_NS6_6detail15normal_iteratorINS6_10device_ptrIS9_EEEEPSA_mNS6_4lessIS9_EEEE10hipError_tT0_T1_T2_jT3_P12ihipStream_tbPNSt15iterator_traitsISM_E10value_typeEPNSS_ISN_E10value_typeEPSO_NS1_7vsmem_tEENKUlT_SM_SN_SO_E_clIPS9_SH_SI_SI_EESL_S11_SM_SN_SO_EUlS11_E1_NS1_11comp_targetILNS1_3genE4ELNS1_11target_archE910ELNS1_3gpuE8ELNS1_3repE0EEENS1_36merge_oddeven_config_static_selectorELNS0_4arch9wavefront6targetE1EEEvSN_,"axG",@progbits,_ZN7rocprim17ROCPRIM_400000_NS6detail17trampoline_kernelINS0_14default_configENS1_38merge_sort_block_merge_config_selectorIN6thrust23THRUST_200600_302600_NS5tupleIffNS6_9null_typeES8_S8_S8_S8_S8_S8_S8_EENS0_10empty_typeEEEZZNS1_27merge_sort_block_merge_implIS3_NS6_6detail15normal_iteratorINS6_10device_ptrIS9_EEEEPSA_mNS6_4lessIS9_EEEE10hipError_tT0_T1_T2_jT3_P12ihipStream_tbPNSt15iterator_traitsISM_E10value_typeEPNSS_ISN_E10value_typeEPSO_NS1_7vsmem_tEENKUlT_SM_SN_SO_E_clIPS9_SH_SI_SI_EESL_S11_SM_SN_SO_EUlS11_E1_NS1_11comp_targetILNS1_3genE4ELNS1_11target_archE910ELNS1_3gpuE8ELNS1_3repE0EEENS1_36merge_oddeven_config_static_selectorELNS0_4arch9wavefront6targetE1EEEvSN_,comdat
.Lfunc_end46:
	.size	_ZN7rocprim17ROCPRIM_400000_NS6detail17trampoline_kernelINS0_14default_configENS1_38merge_sort_block_merge_config_selectorIN6thrust23THRUST_200600_302600_NS5tupleIffNS6_9null_typeES8_S8_S8_S8_S8_S8_S8_EENS0_10empty_typeEEEZZNS1_27merge_sort_block_merge_implIS3_NS6_6detail15normal_iteratorINS6_10device_ptrIS9_EEEEPSA_mNS6_4lessIS9_EEEE10hipError_tT0_T1_T2_jT3_P12ihipStream_tbPNSt15iterator_traitsISM_E10value_typeEPNSS_ISN_E10value_typeEPSO_NS1_7vsmem_tEENKUlT_SM_SN_SO_E_clIPS9_SH_SI_SI_EESL_S11_SM_SN_SO_EUlS11_E1_NS1_11comp_targetILNS1_3genE4ELNS1_11target_archE910ELNS1_3gpuE8ELNS1_3repE0EEENS1_36merge_oddeven_config_static_selectorELNS0_4arch9wavefront6targetE1EEEvSN_, .Lfunc_end46-_ZN7rocprim17ROCPRIM_400000_NS6detail17trampoline_kernelINS0_14default_configENS1_38merge_sort_block_merge_config_selectorIN6thrust23THRUST_200600_302600_NS5tupleIffNS6_9null_typeES8_S8_S8_S8_S8_S8_S8_EENS0_10empty_typeEEEZZNS1_27merge_sort_block_merge_implIS3_NS6_6detail15normal_iteratorINS6_10device_ptrIS9_EEEEPSA_mNS6_4lessIS9_EEEE10hipError_tT0_T1_T2_jT3_P12ihipStream_tbPNSt15iterator_traitsISM_E10value_typeEPNSS_ISN_E10value_typeEPSO_NS1_7vsmem_tEENKUlT_SM_SN_SO_E_clIPS9_SH_SI_SI_EESL_S11_SM_SN_SO_EUlS11_E1_NS1_11comp_targetILNS1_3genE4ELNS1_11target_archE910ELNS1_3gpuE8ELNS1_3repE0EEENS1_36merge_oddeven_config_static_selectorELNS0_4arch9wavefront6targetE1EEEvSN_
                                        ; -- End function
	.section	.AMDGPU.csdata,"",@progbits
; Kernel info:
; codeLenInByte = 0
; NumSgprs: 6
; NumVgprs: 0
; NumAgprs: 0
; TotalNumVgprs: 0
; ScratchSize: 0
; MemoryBound: 0
; FloatMode: 240
; IeeeMode: 1
; LDSByteSize: 0 bytes/workgroup (compile time only)
; SGPRBlocks: 0
; VGPRBlocks: 0
; NumSGPRsForWavesPerEU: 6
; NumVGPRsForWavesPerEU: 1
; AccumOffset: 4
; Occupancy: 8
; WaveLimiterHint : 0
; COMPUTE_PGM_RSRC2:SCRATCH_EN: 0
; COMPUTE_PGM_RSRC2:USER_SGPR: 2
; COMPUTE_PGM_RSRC2:TRAP_HANDLER: 0
; COMPUTE_PGM_RSRC2:TGID_X_EN: 1
; COMPUTE_PGM_RSRC2:TGID_Y_EN: 0
; COMPUTE_PGM_RSRC2:TGID_Z_EN: 0
; COMPUTE_PGM_RSRC2:TIDIG_COMP_CNT: 0
; COMPUTE_PGM_RSRC3_GFX90A:ACCUM_OFFSET: 0
; COMPUTE_PGM_RSRC3_GFX90A:TG_SPLIT: 0
	.section	.text._ZN7rocprim17ROCPRIM_400000_NS6detail17trampoline_kernelINS0_14default_configENS1_38merge_sort_block_merge_config_selectorIN6thrust23THRUST_200600_302600_NS5tupleIffNS6_9null_typeES8_S8_S8_S8_S8_S8_S8_EENS0_10empty_typeEEEZZNS1_27merge_sort_block_merge_implIS3_NS6_6detail15normal_iteratorINS6_10device_ptrIS9_EEEEPSA_mNS6_4lessIS9_EEEE10hipError_tT0_T1_T2_jT3_P12ihipStream_tbPNSt15iterator_traitsISM_E10value_typeEPNSS_ISN_E10value_typeEPSO_NS1_7vsmem_tEENKUlT_SM_SN_SO_E_clIPS9_SH_SI_SI_EESL_S11_SM_SN_SO_EUlS11_E1_NS1_11comp_targetILNS1_3genE3ELNS1_11target_archE908ELNS1_3gpuE7ELNS1_3repE0EEENS1_36merge_oddeven_config_static_selectorELNS0_4arch9wavefront6targetE1EEEvSN_,"axG",@progbits,_ZN7rocprim17ROCPRIM_400000_NS6detail17trampoline_kernelINS0_14default_configENS1_38merge_sort_block_merge_config_selectorIN6thrust23THRUST_200600_302600_NS5tupleIffNS6_9null_typeES8_S8_S8_S8_S8_S8_S8_EENS0_10empty_typeEEEZZNS1_27merge_sort_block_merge_implIS3_NS6_6detail15normal_iteratorINS6_10device_ptrIS9_EEEEPSA_mNS6_4lessIS9_EEEE10hipError_tT0_T1_T2_jT3_P12ihipStream_tbPNSt15iterator_traitsISM_E10value_typeEPNSS_ISN_E10value_typeEPSO_NS1_7vsmem_tEENKUlT_SM_SN_SO_E_clIPS9_SH_SI_SI_EESL_S11_SM_SN_SO_EUlS11_E1_NS1_11comp_targetILNS1_3genE3ELNS1_11target_archE908ELNS1_3gpuE7ELNS1_3repE0EEENS1_36merge_oddeven_config_static_selectorELNS0_4arch9wavefront6targetE1EEEvSN_,comdat
	.protected	_ZN7rocprim17ROCPRIM_400000_NS6detail17trampoline_kernelINS0_14default_configENS1_38merge_sort_block_merge_config_selectorIN6thrust23THRUST_200600_302600_NS5tupleIffNS6_9null_typeES8_S8_S8_S8_S8_S8_S8_EENS0_10empty_typeEEEZZNS1_27merge_sort_block_merge_implIS3_NS6_6detail15normal_iteratorINS6_10device_ptrIS9_EEEEPSA_mNS6_4lessIS9_EEEE10hipError_tT0_T1_T2_jT3_P12ihipStream_tbPNSt15iterator_traitsISM_E10value_typeEPNSS_ISN_E10value_typeEPSO_NS1_7vsmem_tEENKUlT_SM_SN_SO_E_clIPS9_SH_SI_SI_EESL_S11_SM_SN_SO_EUlS11_E1_NS1_11comp_targetILNS1_3genE3ELNS1_11target_archE908ELNS1_3gpuE7ELNS1_3repE0EEENS1_36merge_oddeven_config_static_selectorELNS0_4arch9wavefront6targetE1EEEvSN_ ; -- Begin function _ZN7rocprim17ROCPRIM_400000_NS6detail17trampoline_kernelINS0_14default_configENS1_38merge_sort_block_merge_config_selectorIN6thrust23THRUST_200600_302600_NS5tupleIffNS6_9null_typeES8_S8_S8_S8_S8_S8_S8_EENS0_10empty_typeEEEZZNS1_27merge_sort_block_merge_implIS3_NS6_6detail15normal_iteratorINS6_10device_ptrIS9_EEEEPSA_mNS6_4lessIS9_EEEE10hipError_tT0_T1_T2_jT3_P12ihipStream_tbPNSt15iterator_traitsISM_E10value_typeEPNSS_ISN_E10value_typeEPSO_NS1_7vsmem_tEENKUlT_SM_SN_SO_E_clIPS9_SH_SI_SI_EESL_S11_SM_SN_SO_EUlS11_E1_NS1_11comp_targetILNS1_3genE3ELNS1_11target_archE908ELNS1_3gpuE7ELNS1_3repE0EEENS1_36merge_oddeven_config_static_selectorELNS0_4arch9wavefront6targetE1EEEvSN_
	.globl	_ZN7rocprim17ROCPRIM_400000_NS6detail17trampoline_kernelINS0_14default_configENS1_38merge_sort_block_merge_config_selectorIN6thrust23THRUST_200600_302600_NS5tupleIffNS6_9null_typeES8_S8_S8_S8_S8_S8_S8_EENS0_10empty_typeEEEZZNS1_27merge_sort_block_merge_implIS3_NS6_6detail15normal_iteratorINS6_10device_ptrIS9_EEEEPSA_mNS6_4lessIS9_EEEE10hipError_tT0_T1_T2_jT3_P12ihipStream_tbPNSt15iterator_traitsISM_E10value_typeEPNSS_ISN_E10value_typeEPSO_NS1_7vsmem_tEENKUlT_SM_SN_SO_E_clIPS9_SH_SI_SI_EESL_S11_SM_SN_SO_EUlS11_E1_NS1_11comp_targetILNS1_3genE3ELNS1_11target_archE908ELNS1_3gpuE7ELNS1_3repE0EEENS1_36merge_oddeven_config_static_selectorELNS0_4arch9wavefront6targetE1EEEvSN_
	.p2align	8
	.type	_ZN7rocprim17ROCPRIM_400000_NS6detail17trampoline_kernelINS0_14default_configENS1_38merge_sort_block_merge_config_selectorIN6thrust23THRUST_200600_302600_NS5tupleIffNS6_9null_typeES8_S8_S8_S8_S8_S8_S8_EENS0_10empty_typeEEEZZNS1_27merge_sort_block_merge_implIS3_NS6_6detail15normal_iteratorINS6_10device_ptrIS9_EEEEPSA_mNS6_4lessIS9_EEEE10hipError_tT0_T1_T2_jT3_P12ihipStream_tbPNSt15iterator_traitsISM_E10value_typeEPNSS_ISN_E10value_typeEPSO_NS1_7vsmem_tEENKUlT_SM_SN_SO_E_clIPS9_SH_SI_SI_EESL_S11_SM_SN_SO_EUlS11_E1_NS1_11comp_targetILNS1_3genE3ELNS1_11target_archE908ELNS1_3gpuE7ELNS1_3repE0EEENS1_36merge_oddeven_config_static_selectorELNS0_4arch9wavefront6targetE1EEEvSN_,@function
_ZN7rocprim17ROCPRIM_400000_NS6detail17trampoline_kernelINS0_14default_configENS1_38merge_sort_block_merge_config_selectorIN6thrust23THRUST_200600_302600_NS5tupleIffNS6_9null_typeES8_S8_S8_S8_S8_S8_S8_EENS0_10empty_typeEEEZZNS1_27merge_sort_block_merge_implIS3_NS6_6detail15normal_iteratorINS6_10device_ptrIS9_EEEEPSA_mNS6_4lessIS9_EEEE10hipError_tT0_T1_T2_jT3_P12ihipStream_tbPNSt15iterator_traitsISM_E10value_typeEPNSS_ISN_E10value_typeEPSO_NS1_7vsmem_tEENKUlT_SM_SN_SO_E_clIPS9_SH_SI_SI_EESL_S11_SM_SN_SO_EUlS11_E1_NS1_11comp_targetILNS1_3genE3ELNS1_11target_archE908ELNS1_3gpuE7ELNS1_3repE0EEENS1_36merge_oddeven_config_static_selectorELNS0_4arch9wavefront6targetE1EEEvSN_: ; @_ZN7rocprim17ROCPRIM_400000_NS6detail17trampoline_kernelINS0_14default_configENS1_38merge_sort_block_merge_config_selectorIN6thrust23THRUST_200600_302600_NS5tupleIffNS6_9null_typeES8_S8_S8_S8_S8_S8_S8_EENS0_10empty_typeEEEZZNS1_27merge_sort_block_merge_implIS3_NS6_6detail15normal_iteratorINS6_10device_ptrIS9_EEEEPSA_mNS6_4lessIS9_EEEE10hipError_tT0_T1_T2_jT3_P12ihipStream_tbPNSt15iterator_traitsISM_E10value_typeEPNSS_ISN_E10value_typeEPSO_NS1_7vsmem_tEENKUlT_SM_SN_SO_E_clIPS9_SH_SI_SI_EESL_S11_SM_SN_SO_EUlS11_E1_NS1_11comp_targetILNS1_3genE3ELNS1_11target_archE908ELNS1_3gpuE7ELNS1_3repE0EEENS1_36merge_oddeven_config_static_selectorELNS0_4arch9wavefront6targetE1EEEvSN_
; %bb.0:
	.section	.rodata,"a",@progbits
	.p2align	6, 0x0
	.amdhsa_kernel _ZN7rocprim17ROCPRIM_400000_NS6detail17trampoline_kernelINS0_14default_configENS1_38merge_sort_block_merge_config_selectorIN6thrust23THRUST_200600_302600_NS5tupleIffNS6_9null_typeES8_S8_S8_S8_S8_S8_S8_EENS0_10empty_typeEEEZZNS1_27merge_sort_block_merge_implIS3_NS6_6detail15normal_iteratorINS6_10device_ptrIS9_EEEEPSA_mNS6_4lessIS9_EEEE10hipError_tT0_T1_T2_jT3_P12ihipStream_tbPNSt15iterator_traitsISM_E10value_typeEPNSS_ISN_E10value_typeEPSO_NS1_7vsmem_tEENKUlT_SM_SN_SO_E_clIPS9_SH_SI_SI_EESL_S11_SM_SN_SO_EUlS11_E1_NS1_11comp_targetILNS1_3genE3ELNS1_11target_archE908ELNS1_3gpuE7ELNS1_3repE0EEENS1_36merge_oddeven_config_static_selectorELNS0_4arch9wavefront6targetE1EEEvSN_
		.amdhsa_group_segment_fixed_size 0
		.amdhsa_private_segment_fixed_size 0
		.amdhsa_kernarg_size 56
		.amdhsa_user_sgpr_count 2
		.amdhsa_user_sgpr_dispatch_ptr 0
		.amdhsa_user_sgpr_queue_ptr 0
		.amdhsa_user_sgpr_kernarg_segment_ptr 1
		.amdhsa_user_sgpr_dispatch_id 0
		.amdhsa_user_sgpr_kernarg_preload_length 0
		.amdhsa_user_sgpr_kernarg_preload_offset 0
		.amdhsa_user_sgpr_private_segment_size 0
		.amdhsa_uses_dynamic_stack 0
		.amdhsa_enable_private_segment 0
		.amdhsa_system_sgpr_workgroup_id_x 1
		.amdhsa_system_sgpr_workgroup_id_y 0
		.amdhsa_system_sgpr_workgroup_id_z 0
		.amdhsa_system_sgpr_workgroup_info 0
		.amdhsa_system_vgpr_workitem_id 0
		.amdhsa_next_free_vgpr 1
		.amdhsa_next_free_sgpr 0
		.amdhsa_accum_offset 4
		.amdhsa_reserve_vcc 0
		.amdhsa_float_round_mode_32 0
		.amdhsa_float_round_mode_16_64 0
		.amdhsa_float_denorm_mode_32 3
		.amdhsa_float_denorm_mode_16_64 3
		.amdhsa_dx10_clamp 1
		.amdhsa_ieee_mode 1
		.amdhsa_fp16_overflow 0
		.amdhsa_tg_split 0
		.amdhsa_exception_fp_ieee_invalid_op 0
		.amdhsa_exception_fp_denorm_src 0
		.amdhsa_exception_fp_ieee_div_zero 0
		.amdhsa_exception_fp_ieee_overflow 0
		.amdhsa_exception_fp_ieee_underflow 0
		.amdhsa_exception_fp_ieee_inexact 0
		.amdhsa_exception_int_div_zero 0
	.end_amdhsa_kernel
	.section	.text._ZN7rocprim17ROCPRIM_400000_NS6detail17trampoline_kernelINS0_14default_configENS1_38merge_sort_block_merge_config_selectorIN6thrust23THRUST_200600_302600_NS5tupleIffNS6_9null_typeES8_S8_S8_S8_S8_S8_S8_EENS0_10empty_typeEEEZZNS1_27merge_sort_block_merge_implIS3_NS6_6detail15normal_iteratorINS6_10device_ptrIS9_EEEEPSA_mNS6_4lessIS9_EEEE10hipError_tT0_T1_T2_jT3_P12ihipStream_tbPNSt15iterator_traitsISM_E10value_typeEPNSS_ISN_E10value_typeEPSO_NS1_7vsmem_tEENKUlT_SM_SN_SO_E_clIPS9_SH_SI_SI_EESL_S11_SM_SN_SO_EUlS11_E1_NS1_11comp_targetILNS1_3genE3ELNS1_11target_archE908ELNS1_3gpuE7ELNS1_3repE0EEENS1_36merge_oddeven_config_static_selectorELNS0_4arch9wavefront6targetE1EEEvSN_,"axG",@progbits,_ZN7rocprim17ROCPRIM_400000_NS6detail17trampoline_kernelINS0_14default_configENS1_38merge_sort_block_merge_config_selectorIN6thrust23THRUST_200600_302600_NS5tupleIffNS6_9null_typeES8_S8_S8_S8_S8_S8_S8_EENS0_10empty_typeEEEZZNS1_27merge_sort_block_merge_implIS3_NS6_6detail15normal_iteratorINS6_10device_ptrIS9_EEEEPSA_mNS6_4lessIS9_EEEE10hipError_tT0_T1_T2_jT3_P12ihipStream_tbPNSt15iterator_traitsISM_E10value_typeEPNSS_ISN_E10value_typeEPSO_NS1_7vsmem_tEENKUlT_SM_SN_SO_E_clIPS9_SH_SI_SI_EESL_S11_SM_SN_SO_EUlS11_E1_NS1_11comp_targetILNS1_3genE3ELNS1_11target_archE908ELNS1_3gpuE7ELNS1_3repE0EEENS1_36merge_oddeven_config_static_selectorELNS0_4arch9wavefront6targetE1EEEvSN_,comdat
.Lfunc_end47:
	.size	_ZN7rocprim17ROCPRIM_400000_NS6detail17trampoline_kernelINS0_14default_configENS1_38merge_sort_block_merge_config_selectorIN6thrust23THRUST_200600_302600_NS5tupleIffNS6_9null_typeES8_S8_S8_S8_S8_S8_S8_EENS0_10empty_typeEEEZZNS1_27merge_sort_block_merge_implIS3_NS6_6detail15normal_iteratorINS6_10device_ptrIS9_EEEEPSA_mNS6_4lessIS9_EEEE10hipError_tT0_T1_T2_jT3_P12ihipStream_tbPNSt15iterator_traitsISM_E10value_typeEPNSS_ISN_E10value_typeEPSO_NS1_7vsmem_tEENKUlT_SM_SN_SO_E_clIPS9_SH_SI_SI_EESL_S11_SM_SN_SO_EUlS11_E1_NS1_11comp_targetILNS1_3genE3ELNS1_11target_archE908ELNS1_3gpuE7ELNS1_3repE0EEENS1_36merge_oddeven_config_static_selectorELNS0_4arch9wavefront6targetE1EEEvSN_, .Lfunc_end47-_ZN7rocprim17ROCPRIM_400000_NS6detail17trampoline_kernelINS0_14default_configENS1_38merge_sort_block_merge_config_selectorIN6thrust23THRUST_200600_302600_NS5tupleIffNS6_9null_typeES8_S8_S8_S8_S8_S8_S8_EENS0_10empty_typeEEEZZNS1_27merge_sort_block_merge_implIS3_NS6_6detail15normal_iteratorINS6_10device_ptrIS9_EEEEPSA_mNS6_4lessIS9_EEEE10hipError_tT0_T1_T2_jT3_P12ihipStream_tbPNSt15iterator_traitsISM_E10value_typeEPNSS_ISN_E10value_typeEPSO_NS1_7vsmem_tEENKUlT_SM_SN_SO_E_clIPS9_SH_SI_SI_EESL_S11_SM_SN_SO_EUlS11_E1_NS1_11comp_targetILNS1_3genE3ELNS1_11target_archE908ELNS1_3gpuE7ELNS1_3repE0EEENS1_36merge_oddeven_config_static_selectorELNS0_4arch9wavefront6targetE1EEEvSN_
                                        ; -- End function
	.section	.AMDGPU.csdata,"",@progbits
; Kernel info:
; codeLenInByte = 0
; NumSgprs: 6
; NumVgprs: 0
; NumAgprs: 0
; TotalNumVgprs: 0
; ScratchSize: 0
; MemoryBound: 0
; FloatMode: 240
; IeeeMode: 1
; LDSByteSize: 0 bytes/workgroup (compile time only)
; SGPRBlocks: 0
; VGPRBlocks: 0
; NumSGPRsForWavesPerEU: 6
; NumVGPRsForWavesPerEU: 1
; AccumOffset: 4
; Occupancy: 8
; WaveLimiterHint : 0
; COMPUTE_PGM_RSRC2:SCRATCH_EN: 0
; COMPUTE_PGM_RSRC2:USER_SGPR: 2
; COMPUTE_PGM_RSRC2:TRAP_HANDLER: 0
; COMPUTE_PGM_RSRC2:TGID_X_EN: 1
; COMPUTE_PGM_RSRC2:TGID_Y_EN: 0
; COMPUTE_PGM_RSRC2:TGID_Z_EN: 0
; COMPUTE_PGM_RSRC2:TIDIG_COMP_CNT: 0
; COMPUTE_PGM_RSRC3_GFX90A:ACCUM_OFFSET: 0
; COMPUTE_PGM_RSRC3_GFX90A:TG_SPLIT: 0
	.section	.text._ZN7rocprim17ROCPRIM_400000_NS6detail17trampoline_kernelINS0_14default_configENS1_38merge_sort_block_merge_config_selectorIN6thrust23THRUST_200600_302600_NS5tupleIffNS6_9null_typeES8_S8_S8_S8_S8_S8_S8_EENS0_10empty_typeEEEZZNS1_27merge_sort_block_merge_implIS3_NS6_6detail15normal_iteratorINS6_10device_ptrIS9_EEEEPSA_mNS6_4lessIS9_EEEE10hipError_tT0_T1_T2_jT3_P12ihipStream_tbPNSt15iterator_traitsISM_E10value_typeEPNSS_ISN_E10value_typeEPSO_NS1_7vsmem_tEENKUlT_SM_SN_SO_E_clIPS9_SH_SI_SI_EESL_S11_SM_SN_SO_EUlS11_E1_NS1_11comp_targetILNS1_3genE2ELNS1_11target_archE906ELNS1_3gpuE6ELNS1_3repE0EEENS1_36merge_oddeven_config_static_selectorELNS0_4arch9wavefront6targetE1EEEvSN_,"axG",@progbits,_ZN7rocprim17ROCPRIM_400000_NS6detail17trampoline_kernelINS0_14default_configENS1_38merge_sort_block_merge_config_selectorIN6thrust23THRUST_200600_302600_NS5tupleIffNS6_9null_typeES8_S8_S8_S8_S8_S8_S8_EENS0_10empty_typeEEEZZNS1_27merge_sort_block_merge_implIS3_NS6_6detail15normal_iteratorINS6_10device_ptrIS9_EEEEPSA_mNS6_4lessIS9_EEEE10hipError_tT0_T1_T2_jT3_P12ihipStream_tbPNSt15iterator_traitsISM_E10value_typeEPNSS_ISN_E10value_typeEPSO_NS1_7vsmem_tEENKUlT_SM_SN_SO_E_clIPS9_SH_SI_SI_EESL_S11_SM_SN_SO_EUlS11_E1_NS1_11comp_targetILNS1_3genE2ELNS1_11target_archE906ELNS1_3gpuE6ELNS1_3repE0EEENS1_36merge_oddeven_config_static_selectorELNS0_4arch9wavefront6targetE1EEEvSN_,comdat
	.protected	_ZN7rocprim17ROCPRIM_400000_NS6detail17trampoline_kernelINS0_14default_configENS1_38merge_sort_block_merge_config_selectorIN6thrust23THRUST_200600_302600_NS5tupleIffNS6_9null_typeES8_S8_S8_S8_S8_S8_S8_EENS0_10empty_typeEEEZZNS1_27merge_sort_block_merge_implIS3_NS6_6detail15normal_iteratorINS6_10device_ptrIS9_EEEEPSA_mNS6_4lessIS9_EEEE10hipError_tT0_T1_T2_jT3_P12ihipStream_tbPNSt15iterator_traitsISM_E10value_typeEPNSS_ISN_E10value_typeEPSO_NS1_7vsmem_tEENKUlT_SM_SN_SO_E_clIPS9_SH_SI_SI_EESL_S11_SM_SN_SO_EUlS11_E1_NS1_11comp_targetILNS1_3genE2ELNS1_11target_archE906ELNS1_3gpuE6ELNS1_3repE0EEENS1_36merge_oddeven_config_static_selectorELNS0_4arch9wavefront6targetE1EEEvSN_ ; -- Begin function _ZN7rocprim17ROCPRIM_400000_NS6detail17trampoline_kernelINS0_14default_configENS1_38merge_sort_block_merge_config_selectorIN6thrust23THRUST_200600_302600_NS5tupleIffNS6_9null_typeES8_S8_S8_S8_S8_S8_S8_EENS0_10empty_typeEEEZZNS1_27merge_sort_block_merge_implIS3_NS6_6detail15normal_iteratorINS6_10device_ptrIS9_EEEEPSA_mNS6_4lessIS9_EEEE10hipError_tT0_T1_T2_jT3_P12ihipStream_tbPNSt15iterator_traitsISM_E10value_typeEPNSS_ISN_E10value_typeEPSO_NS1_7vsmem_tEENKUlT_SM_SN_SO_E_clIPS9_SH_SI_SI_EESL_S11_SM_SN_SO_EUlS11_E1_NS1_11comp_targetILNS1_3genE2ELNS1_11target_archE906ELNS1_3gpuE6ELNS1_3repE0EEENS1_36merge_oddeven_config_static_selectorELNS0_4arch9wavefront6targetE1EEEvSN_
	.globl	_ZN7rocprim17ROCPRIM_400000_NS6detail17trampoline_kernelINS0_14default_configENS1_38merge_sort_block_merge_config_selectorIN6thrust23THRUST_200600_302600_NS5tupleIffNS6_9null_typeES8_S8_S8_S8_S8_S8_S8_EENS0_10empty_typeEEEZZNS1_27merge_sort_block_merge_implIS3_NS6_6detail15normal_iteratorINS6_10device_ptrIS9_EEEEPSA_mNS6_4lessIS9_EEEE10hipError_tT0_T1_T2_jT3_P12ihipStream_tbPNSt15iterator_traitsISM_E10value_typeEPNSS_ISN_E10value_typeEPSO_NS1_7vsmem_tEENKUlT_SM_SN_SO_E_clIPS9_SH_SI_SI_EESL_S11_SM_SN_SO_EUlS11_E1_NS1_11comp_targetILNS1_3genE2ELNS1_11target_archE906ELNS1_3gpuE6ELNS1_3repE0EEENS1_36merge_oddeven_config_static_selectorELNS0_4arch9wavefront6targetE1EEEvSN_
	.p2align	8
	.type	_ZN7rocprim17ROCPRIM_400000_NS6detail17trampoline_kernelINS0_14default_configENS1_38merge_sort_block_merge_config_selectorIN6thrust23THRUST_200600_302600_NS5tupleIffNS6_9null_typeES8_S8_S8_S8_S8_S8_S8_EENS0_10empty_typeEEEZZNS1_27merge_sort_block_merge_implIS3_NS6_6detail15normal_iteratorINS6_10device_ptrIS9_EEEEPSA_mNS6_4lessIS9_EEEE10hipError_tT0_T1_T2_jT3_P12ihipStream_tbPNSt15iterator_traitsISM_E10value_typeEPNSS_ISN_E10value_typeEPSO_NS1_7vsmem_tEENKUlT_SM_SN_SO_E_clIPS9_SH_SI_SI_EESL_S11_SM_SN_SO_EUlS11_E1_NS1_11comp_targetILNS1_3genE2ELNS1_11target_archE906ELNS1_3gpuE6ELNS1_3repE0EEENS1_36merge_oddeven_config_static_selectorELNS0_4arch9wavefront6targetE1EEEvSN_,@function
_ZN7rocprim17ROCPRIM_400000_NS6detail17trampoline_kernelINS0_14default_configENS1_38merge_sort_block_merge_config_selectorIN6thrust23THRUST_200600_302600_NS5tupleIffNS6_9null_typeES8_S8_S8_S8_S8_S8_S8_EENS0_10empty_typeEEEZZNS1_27merge_sort_block_merge_implIS3_NS6_6detail15normal_iteratorINS6_10device_ptrIS9_EEEEPSA_mNS6_4lessIS9_EEEE10hipError_tT0_T1_T2_jT3_P12ihipStream_tbPNSt15iterator_traitsISM_E10value_typeEPNSS_ISN_E10value_typeEPSO_NS1_7vsmem_tEENKUlT_SM_SN_SO_E_clIPS9_SH_SI_SI_EESL_S11_SM_SN_SO_EUlS11_E1_NS1_11comp_targetILNS1_3genE2ELNS1_11target_archE906ELNS1_3gpuE6ELNS1_3repE0EEENS1_36merge_oddeven_config_static_selectorELNS0_4arch9wavefront6targetE1EEEvSN_: ; @_ZN7rocprim17ROCPRIM_400000_NS6detail17trampoline_kernelINS0_14default_configENS1_38merge_sort_block_merge_config_selectorIN6thrust23THRUST_200600_302600_NS5tupleIffNS6_9null_typeES8_S8_S8_S8_S8_S8_S8_EENS0_10empty_typeEEEZZNS1_27merge_sort_block_merge_implIS3_NS6_6detail15normal_iteratorINS6_10device_ptrIS9_EEEEPSA_mNS6_4lessIS9_EEEE10hipError_tT0_T1_T2_jT3_P12ihipStream_tbPNSt15iterator_traitsISM_E10value_typeEPNSS_ISN_E10value_typeEPSO_NS1_7vsmem_tEENKUlT_SM_SN_SO_E_clIPS9_SH_SI_SI_EESL_S11_SM_SN_SO_EUlS11_E1_NS1_11comp_targetILNS1_3genE2ELNS1_11target_archE906ELNS1_3gpuE6ELNS1_3repE0EEENS1_36merge_oddeven_config_static_selectorELNS0_4arch9wavefront6targetE1EEEvSN_
; %bb.0:
	.section	.rodata,"a",@progbits
	.p2align	6, 0x0
	.amdhsa_kernel _ZN7rocprim17ROCPRIM_400000_NS6detail17trampoline_kernelINS0_14default_configENS1_38merge_sort_block_merge_config_selectorIN6thrust23THRUST_200600_302600_NS5tupleIffNS6_9null_typeES8_S8_S8_S8_S8_S8_S8_EENS0_10empty_typeEEEZZNS1_27merge_sort_block_merge_implIS3_NS6_6detail15normal_iteratorINS6_10device_ptrIS9_EEEEPSA_mNS6_4lessIS9_EEEE10hipError_tT0_T1_T2_jT3_P12ihipStream_tbPNSt15iterator_traitsISM_E10value_typeEPNSS_ISN_E10value_typeEPSO_NS1_7vsmem_tEENKUlT_SM_SN_SO_E_clIPS9_SH_SI_SI_EESL_S11_SM_SN_SO_EUlS11_E1_NS1_11comp_targetILNS1_3genE2ELNS1_11target_archE906ELNS1_3gpuE6ELNS1_3repE0EEENS1_36merge_oddeven_config_static_selectorELNS0_4arch9wavefront6targetE1EEEvSN_
		.amdhsa_group_segment_fixed_size 0
		.amdhsa_private_segment_fixed_size 0
		.amdhsa_kernarg_size 56
		.amdhsa_user_sgpr_count 2
		.amdhsa_user_sgpr_dispatch_ptr 0
		.amdhsa_user_sgpr_queue_ptr 0
		.amdhsa_user_sgpr_kernarg_segment_ptr 1
		.amdhsa_user_sgpr_dispatch_id 0
		.amdhsa_user_sgpr_kernarg_preload_length 0
		.amdhsa_user_sgpr_kernarg_preload_offset 0
		.amdhsa_user_sgpr_private_segment_size 0
		.amdhsa_uses_dynamic_stack 0
		.amdhsa_enable_private_segment 0
		.amdhsa_system_sgpr_workgroup_id_x 1
		.amdhsa_system_sgpr_workgroup_id_y 0
		.amdhsa_system_sgpr_workgroup_id_z 0
		.amdhsa_system_sgpr_workgroup_info 0
		.amdhsa_system_vgpr_workitem_id 0
		.amdhsa_next_free_vgpr 1
		.amdhsa_next_free_sgpr 0
		.amdhsa_accum_offset 4
		.amdhsa_reserve_vcc 0
		.amdhsa_float_round_mode_32 0
		.amdhsa_float_round_mode_16_64 0
		.amdhsa_float_denorm_mode_32 3
		.amdhsa_float_denorm_mode_16_64 3
		.amdhsa_dx10_clamp 1
		.amdhsa_ieee_mode 1
		.amdhsa_fp16_overflow 0
		.amdhsa_tg_split 0
		.amdhsa_exception_fp_ieee_invalid_op 0
		.amdhsa_exception_fp_denorm_src 0
		.amdhsa_exception_fp_ieee_div_zero 0
		.amdhsa_exception_fp_ieee_overflow 0
		.amdhsa_exception_fp_ieee_underflow 0
		.amdhsa_exception_fp_ieee_inexact 0
		.amdhsa_exception_int_div_zero 0
	.end_amdhsa_kernel
	.section	.text._ZN7rocprim17ROCPRIM_400000_NS6detail17trampoline_kernelINS0_14default_configENS1_38merge_sort_block_merge_config_selectorIN6thrust23THRUST_200600_302600_NS5tupleIffNS6_9null_typeES8_S8_S8_S8_S8_S8_S8_EENS0_10empty_typeEEEZZNS1_27merge_sort_block_merge_implIS3_NS6_6detail15normal_iteratorINS6_10device_ptrIS9_EEEEPSA_mNS6_4lessIS9_EEEE10hipError_tT0_T1_T2_jT3_P12ihipStream_tbPNSt15iterator_traitsISM_E10value_typeEPNSS_ISN_E10value_typeEPSO_NS1_7vsmem_tEENKUlT_SM_SN_SO_E_clIPS9_SH_SI_SI_EESL_S11_SM_SN_SO_EUlS11_E1_NS1_11comp_targetILNS1_3genE2ELNS1_11target_archE906ELNS1_3gpuE6ELNS1_3repE0EEENS1_36merge_oddeven_config_static_selectorELNS0_4arch9wavefront6targetE1EEEvSN_,"axG",@progbits,_ZN7rocprim17ROCPRIM_400000_NS6detail17trampoline_kernelINS0_14default_configENS1_38merge_sort_block_merge_config_selectorIN6thrust23THRUST_200600_302600_NS5tupleIffNS6_9null_typeES8_S8_S8_S8_S8_S8_S8_EENS0_10empty_typeEEEZZNS1_27merge_sort_block_merge_implIS3_NS6_6detail15normal_iteratorINS6_10device_ptrIS9_EEEEPSA_mNS6_4lessIS9_EEEE10hipError_tT0_T1_T2_jT3_P12ihipStream_tbPNSt15iterator_traitsISM_E10value_typeEPNSS_ISN_E10value_typeEPSO_NS1_7vsmem_tEENKUlT_SM_SN_SO_E_clIPS9_SH_SI_SI_EESL_S11_SM_SN_SO_EUlS11_E1_NS1_11comp_targetILNS1_3genE2ELNS1_11target_archE906ELNS1_3gpuE6ELNS1_3repE0EEENS1_36merge_oddeven_config_static_selectorELNS0_4arch9wavefront6targetE1EEEvSN_,comdat
.Lfunc_end48:
	.size	_ZN7rocprim17ROCPRIM_400000_NS6detail17trampoline_kernelINS0_14default_configENS1_38merge_sort_block_merge_config_selectorIN6thrust23THRUST_200600_302600_NS5tupleIffNS6_9null_typeES8_S8_S8_S8_S8_S8_S8_EENS0_10empty_typeEEEZZNS1_27merge_sort_block_merge_implIS3_NS6_6detail15normal_iteratorINS6_10device_ptrIS9_EEEEPSA_mNS6_4lessIS9_EEEE10hipError_tT0_T1_T2_jT3_P12ihipStream_tbPNSt15iterator_traitsISM_E10value_typeEPNSS_ISN_E10value_typeEPSO_NS1_7vsmem_tEENKUlT_SM_SN_SO_E_clIPS9_SH_SI_SI_EESL_S11_SM_SN_SO_EUlS11_E1_NS1_11comp_targetILNS1_3genE2ELNS1_11target_archE906ELNS1_3gpuE6ELNS1_3repE0EEENS1_36merge_oddeven_config_static_selectorELNS0_4arch9wavefront6targetE1EEEvSN_, .Lfunc_end48-_ZN7rocprim17ROCPRIM_400000_NS6detail17trampoline_kernelINS0_14default_configENS1_38merge_sort_block_merge_config_selectorIN6thrust23THRUST_200600_302600_NS5tupleIffNS6_9null_typeES8_S8_S8_S8_S8_S8_S8_EENS0_10empty_typeEEEZZNS1_27merge_sort_block_merge_implIS3_NS6_6detail15normal_iteratorINS6_10device_ptrIS9_EEEEPSA_mNS6_4lessIS9_EEEE10hipError_tT0_T1_T2_jT3_P12ihipStream_tbPNSt15iterator_traitsISM_E10value_typeEPNSS_ISN_E10value_typeEPSO_NS1_7vsmem_tEENKUlT_SM_SN_SO_E_clIPS9_SH_SI_SI_EESL_S11_SM_SN_SO_EUlS11_E1_NS1_11comp_targetILNS1_3genE2ELNS1_11target_archE906ELNS1_3gpuE6ELNS1_3repE0EEENS1_36merge_oddeven_config_static_selectorELNS0_4arch9wavefront6targetE1EEEvSN_
                                        ; -- End function
	.section	.AMDGPU.csdata,"",@progbits
; Kernel info:
; codeLenInByte = 0
; NumSgprs: 6
; NumVgprs: 0
; NumAgprs: 0
; TotalNumVgprs: 0
; ScratchSize: 0
; MemoryBound: 0
; FloatMode: 240
; IeeeMode: 1
; LDSByteSize: 0 bytes/workgroup (compile time only)
; SGPRBlocks: 0
; VGPRBlocks: 0
; NumSGPRsForWavesPerEU: 6
; NumVGPRsForWavesPerEU: 1
; AccumOffset: 4
; Occupancy: 8
; WaveLimiterHint : 0
; COMPUTE_PGM_RSRC2:SCRATCH_EN: 0
; COMPUTE_PGM_RSRC2:USER_SGPR: 2
; COMPUTE_PGM_RSRC2:TRAP_HANDLER: 0
; COMPUTE_PGM_RSRC2:TGID_X_EN: 1
; COMPUTE_PGM_RSRC2:TGID_Y_EN: 0
; COMPUTE_PGM_RSRC2:TGID_Z_EN: 0
; COMPUTE_PGM_RSRC2:TIDIG_COMP_CNT: 0
; COMPUTE_PGM_RSRC3_GFX90A:ACCUM_OFFSET: 0
; COMPUTE_PGM_RSRC3_GFX90A:TG_SPLIT: 0
	.section	.text._ZN7rocprim17ROCPRIM_400000_NS6detail17trampoline_kernelINS0_14default_configENS1_38merge_sort_block_merge_config_selectorIN6thrust23THRUST_200600_302600_NS5tupleIffNS6_9null_typeES8_S8_S8_S8_S8_S8_S8_EENS0_10empty_typeEEEZZNS1_27merge_sort_block_merge_implIS3_NS6_6detail15normal_iteratorINS6_10device_ptrIS9_EEEEPSA_mNS6_4lessIS9_EEEE10hipError_tT0_T1_T2_jT3_P12ihipStream_tbPNSt15iterator_traitsISM_E10value_typeEPNSS_ISN_E10value_typeEPSO_NS1_7vsmem_tEENKUlT_SM_SN_SO_E_clIPS9_SH_SI_SI_EESL_S11_SM_SN_SO_EUlS11_E1_NS1_11comp_targetILNS1_3genE9ELNS1_11target_archE1100ELNS1_3gpuE3ELNS1_3repE0EEENS1_36merge_oddeven_config_static_selectorELNS0_4arch9wavefront6targetE1EEEvSN_,"axG",@progbits,_ZN7rocprim17ROCPRIM_400000_NS6detail17trampoline_kernelINS0_14default_configENS1_38merge_sort_block_merge_config_selectorIN6thrust23THRUST_200600_302600_NS5tupleIffNS6_9null_typeES8_S8_S8_S8_S8_S8_S8_EENS0_10empty_typeEEEZZNS1_27merge_sort_block_merge_implIS3_NS6_6detail15normal_iteratorINS6_10device_ptrIS9_EEEEPSA_mNS6_4lessIS9_EEEE10hipError_tT0_T1_T2_jT3_P12ihipStream_tbPNSt15iterator_traitsISM_E10value_typeEPNSS_ISN_E10value_typeEPSO_NS1_7vsmem_tEENKUlT_SM_SN_SO_E_clIPS9_SH_SI_SI_EESL_S11_SM_SN_SO_EUlS11_E1_NS1_11comp_targetILNS1_3genE9ELNS1_11target_archE1100ELNS1_3gpuE3ELNS1_3repE0EEENS1_36merge_oddeven_config_static_selectorELNS0_4arch9wavefront6targetE1EEEvSN_,comdat
	.protected	_ZN7rocprim17ROCPRIM_400000_NS6detail17trampoline_kernelINS0_14default_configENS1_38merge_sort_block_merge_config_selectorIN6thrust23THRUST_200600_302600_NS5tupleIffNS6_9null_typeES8_S8_S8_S8_S8_S8_S8_EENS0_10empty_typeEEEZZNS1_27merge_sort_block_merge_implIS3_NS6_6detail15normal_iteratorINS6_10device_ptrIS9_EEEEPSA_mNS6_4lessIS9_EEEE10hipError_tT0_T1_T2_jT3_P12ihipStream_tbPNSt15iterator_traitsISM_E10value_typeEPNSS_ISN_E10value_typeEPSO_NS1_7vsmem_tEENKUlT_SM_SN_SO_E_clIPS9_SH_SI_SI_EESL_S11_SM_SN_SO_EUlS11_E1_NS1_11comp_targetILNS1_3genE9ELNS1_11target_archE1100ELNS1_3gpuE3ELNS1_3repE0EEENS1_36merge_oddeven_config_static_selectorELNS0_4arch9wavefront6targetE1EEEvSN_ ; -- Begin function _ZN7rocprim17ROCPRIM_400000_NS6detail17trampoline_kernelINS0_14default_configENS1_38merge_sort_block_merge_config_selectorIN6thrust23THRUST_200600_302600_NS5tupleIffNS6_9null_typeES8_S8_S8_S8_S8_S8_S8_EENS0_10empty_typeEEEZZNS1_27merge_sort_block_merge_implIS3_NS6_6detail15normal_iteratorINS6_10device_ptrIS9_EEEEPSA_mNS6_4lessIS9_EEEE10hipError_tT0_T1_T2_jT3_P12ihipStream_tbPNSt15iterator_traitsISM_E10value_typeEPNSS_ISN_E10value_typeEPSO_NS1_7vsmem_tEENKUlT_SM_SN_SO_E_clIPS9_SH_SI_SI_EESL_S11_SM_SN_SO_EUlS11_E1_NS1_11comp_targetILNS1_3genE9ELNS1_11target_archE1100ELNS1_3gpuE3ELNS1_3repE0EEENS1_36merge_oddeven_config_static_selectorELNS0_4arch9wavefront6targetE1EEEvSN_
	.globl	_ZN7rocprim17ROCPRIM_400000_NS6detail17trampoline_kernelINS0_14default_configENS1_38merge_sort_block_merge_config_selectorIN6thrust23THRUST_200600_302600_NS5tupleIffNS6_9null_typeES8_S8_S8_S8_S8_S8_S8_EENS0_10empty_typeEEEZZNS1_27merge_sort_block_merge_implIS3_NS6_6detail15normal_iteratorINS6_10device_ptrIS9_EEEEPSA_mNS6_4lessIS9_EEEE10hipError_tT0_T1_T2_jT3_P12ihipStream_tbPNSt15iterator_traitsISM_E10value_typeEPNSS_ISN_E10value_typeEPSO_NS1_7vsmem_tEENKUlT_SM_SN_SO_E_clIPS9_SH_SI_SI_EESL_S11_SM_SN_SO_EUlS11_E1_NS1_11comp_targetILNS1_3genE9ELNS1_11target_archE1100ELNS1_3gpuE3ELNS1_3repE0EEENS1_36merge_oddeven_config_static_selectorELNS0_4arch9wavefront6targetE1EEEvSN_
	.p2align	8
	.type	_ZN7rocprim17ROCPRIM_400000_NS6detail17trampoline_kernelINS0_14default_configENS1_38merge_sort_block_merge_config_selectorIN6thrust23THRUST_200600_302600_NS5tupleIffNS6_9null_typeES8_S8_S8_S8_S8_S8_S8_EENS0_10empty_typeEEEZZNS1_27merge_sort_block_merge_implIS3_NS6_6detail15normal_iteratorINS6_10device_ptrIS9_EEEEPSA_mNS6_4lessIS9_EEEE10hipError_tT0_T1_T2_jT3_P12ihipStream_tbPNSt15iterator_traitsISM_E10value_typeEPNSS_ISN_E10value_typeEPSO_NS1_7vsmem_tEENKUlT_SM_SN_SO_E_clIPS9_SH_SI_SI_EESL_S11_SM_SN_SO_EUlS11_E1_NS1_11comp_targetILNS1_3genE9ELNS1_11target_archE1100ELNS1_3gpuE3ELNS1_3repE0EEENS1_36merge_oddeven_config_static_selectorELNS0_4arch9wavefront6targetE1EEEvSN_,@function
_ZN7rocprim17ROCPRIM_400000_NS6detail17trampoline_kernelINS0_14default_configENS1_38merge_sort_block_merge_config_selectorIN6thrust23THRUST_200600_302600_NS5tupleIffNS6_9null_typeES8_S8_S8_S8_S8_S8_S8_EENS0_10empty_typeEEEZZNS1_27merge_sort_block_merge_implIS3_NS6_6detail15normal_iteratorINS6_10device_ptrIS9_EEEEPSA_mNS6_4lessIS9_EEEE10hipError_tT0_T1_T2_jT3_P12ihipStream_tbPNSt15iterator_traitsISM_E10value_typeEPNSS_ISN_E10value_typeEPSO_NS1_7vsmem_tEENKUlT_SM_SN_SO_E_clIPS9_SH_SI_SI_EESL_S11_SM_SN_SO_EUlS11_E1_NS1_11comp_targetILNS1_3genE9ELNS1_11target_archE1100ELNS1_3gpuE3ELNS1_3repE0EEENS1_36merge_oddeven_config_static_selectorELNS0_4arch9wavefront6targetE1EEEvSN_: ; @_ZN7rocprim17ROCPRIM_400000_NS6detail17trampoline_kernelINS0_14default_configENS1_38merge_sort_block_merge_config_selectorIN6thrust23THRUST_200600_302600_NS5tupleIffNS6_9null_typeES8_S8_S8_S8_S8_S8_S8_EENS0_10empty_typeEEEZZNS1_27merge_sort_block_merge_implIS3_NS6_6detail15normal_iteratorINS6_10device_ptrIS9_EEEEPSA_mNS6_4lessIS9_EEEE10hipError_tT0_T1_T2_jT3_P12ihipStream_tbPNSt15iterator_traitsISM_E10value_typeEPNSS_ISN_E10value_typeEPSO_NS1_7vsmem_tEENKUlT_SM_SN_SO_E_clIPS9_SH_SI_SI_EESL_S11_SM_SN_SO_EUlS11_E1_NS1_11comp_targetILNS1_3genE9ELNS1_11target_archE1100ELNS1_3gpuE3ELNS1_3repE0EEENS1_36merge_oddeven_config_static_selectorELNS0_4arch9wavefront6targetE1EEEvSN_
; %bb.0:
	.section	.rodata,"a",@progbits
	.p2align	6, 0x0
	.amdhsa_kernel _ZN7rocprim17ROCPRIM_400000_NS6detail17trampoline_kernelINS0_14default_configENS1_38merge_sort_block_merge_config_selectorIN6thrust23THRUST_200600_302600_NS5tupleIffNS6_9null_typeES8_S8_S8_S8_S8_S8_S8_EENS0_10empty_typeEEEZZNS1_27merge_sort_block_merge_implIS3_NS6_6detail15normal_iteratorINS6_10device_ptrIS9_EEEEPSA_mNS6_4lessIS9_EEEE10hipError_tT0_T1_T2_jT3_P12ihipStream_tbPNSt15iterator_traitsISM_E10value_typeEPNSS_ISN_E10value_typeEPSO_NS1_7vsmem_tEENKUlT_SM_SN_SO_E_clIPS9_SH_SI_SI_EESL_S11_SM_SN_SO_EUlS11_E1_NS1_11comp_targetILNS1_3genE9ELNS1_11target_archE1100ELNS1_3gpuE3ELNS1_3repE0EEENS1_36merge_oddeven_config_static_selectorELNS0_4arch9wavefront6targetE1EEEvSN_
		.amdhsa_group_segment_fixed_size 0
		.amdhsa_private_segment_fixed_size 0
		.amdhsa_kernarg_size 56
		.amdhsa_user_sgpr_count 2
		.amdhsa_user_sgpr_dispatch_ptr 0
		.amdhsa_user_sgpr_queue_ptr 0
		.amdhsa_user_sgpr_kernarg_segment_ptr 1
		.amdhsa_user_sgpr_dispatch_id 0
		.amdhsa_user_sgpr_kernarg_preload_length 0
		.amdhsa_user_sgpr_kernarg_preload_offset 0
		.amdhsa_user_sgpr_private_segment_size 0
		.amdhsa_uses_dynamic_stack 0
		.amdhsa_enable_private_segment 0
		.amdhsa_system_sgpr_workgroup_id_x 1
		.amdhsa_system_sgpr_workgroup_id_y 0
		.amdhsa_system_sgpr_workgroup_id_z 0
		.amdhsa_system_sgpr_workgroup_info 0
		.amdhsa_system_vgpr_workitem_id 0
		.amdhsa_next_free_vgpr 1
		.amdhsa_next_free_sgpr 0
		.amdhsa_accum_offset 4
		.amdhsa_reserve_vcc 0
		.amdhsa_float_round_mode_32 0
		.amdhsa_float_round_mode_16_64 0
		.amdhsa_float_denorm_mode_32 3
		.amdhsa_float_denorm_mode_16_64 3
		.amdhsa_dx10_clamp 1
		.amdhsa_ieee_mode 1
		.amdhsa_fp16_overflow 0
		.amdhsa_tg_split 0
		.amdhsa_exception_fp_ieee_invalid_op 0
		.amdhsa_exception_fp_denorm_src 0
		.amdhsa_exception_fp_ieee_div_zero 0
		.amdhsa_exception_fp_ieee_overflow 0
		.amdhsa_exception_fp_ieee_underflow 0
		.amdhsa_exception_fp_ieee_inexact 0
		.amdhsa_exception_int_div_zero 0
	.end_amdhsa_kernel
	.section	.text._ZN7rocprim17ROCPRIM_400000_NS6detail17trampoline_kernelINS0_14default_configENS1_38merge_sort_block_merge_config_selectorIN6thrust23THRUST_200600_302600_NS5tupleIffNS6_9null_typeES8_S8_S8_S8_S8_S8_S8_EENS0_10empty_typeEEEZZNS1_27merge_sort_block_merge_implIS3_NS6_6detail15normal_iteratorINS6_10device_ptrIS9_EEEEPSA_mNS6_4lessIS9_EEEE10hipError_tT0_T1_T2_jT3_P12ihipStream_tbPNSt15iterator_traitsISM_E10value_typeEPNSS_ISN_E10value_typeEPSO_NS1_7vsmem_tEENKUlT_SM_SN_SO_E_clIPS9_SH_SI_SI_EESL_S11_SM_SN_SO_EUlS11_E1_NS1_11comp_targetILNS1_3genE9ELNS1_11target_archE1100ELNS1_3gpuE3ELNS1_3repE0EEENS1_36merge_oddeven_config_static_selectorELNS0_4arch9wavefront6targetE1EEEvSN_,"axG",@progbits,_ZN7rocprim17ROCPRIM_400000_NS6detail17trampoline_kernelINS0_14default_configENS1_38merge_sort_block_merge_config_selectorIN6thrust23THRUST_200600_302600_NS5tupleIffNS6_9null_typeES8_S8_S8_S8_S8_S8_S8_EENS0_10empty_typeEEEZZNS1_27merge_sort_block_merge_implIS3_NS6_6detail15normal_iteratorINS6_10device_ptrIS9_EEEEPSA_mNS6_4lessIS9_EEEE10hipError_tT0_T1_T2_jT3_P12ihipStream_tbPNSt15iterator_traitsISM_E10value_typeEPNSS_ISN_E10value_typeEPSO_NS1_7vsmem_tEENKUlT_SM_SN_SO_E_clIPS9_SH_SI_SI_EESL_S11_SM_SN_SO_EUlS11_E1_NS1_11comp_targetILNS1_3genE9ELNS1_11target_archE1100ELNS1_3gpuE3ELNS1_3repE0EEENS1_36merge_oddeven_config_static_selectorELNS0_4arch9wavefront6targetE1EEEvSN_,comdat
.Lfunc_end49:
	.size	_ZN7rocprim17ROCPRIM_400000_NS6detail17trampoline_kernelINS0_14default_configENS1_38merge_sort_block_merge_config_selectorIN6thrust23THRUST_200600_302600_NS5tupleIffNS6_9null_typeES8_S8_S8_S8_S8_S8_S8_EENS0_10empty_typeEEEZZNS1_27merge_sort_block_merge_implIS3_NS6_6detail15normal_iteratorINS6_10device_ptrIS9_EEEEPSA_mNS6_4lessIS9_EEEE10hipError_tT0_T1_T2_jT3_P12ihipStream_tbPNSt15iterator_traitsISM_E10value_typeEPNSS_ISN_E10value_typeEPSO_NS1_7vsmem_tEENKUlT_SM_SN_SO_E_clIPS9_SH_SI_SI_EESL_S11_SM_SN_SO_EUlS11_E1_NS1_11comp_targetILNS1_3genE9ELNS1_11target_archE1100ELNS1_3gpuE3ELNS1_3repE0EEENS1_36merge_oddeven_config_static_selectorELNS0_4arch9wavefront6targetE1EEEvSN_, .Lfunc_end49-_ZN7rocprim17ROCPRIM_400000_NS6detail17trampoline_kernelINS0_14default_configENS1_38merge_sort_block_merge_config_selectorIN6thrust23THRUST_200600_302600_NS5tupleIffNS6_9null_typeES8_S8_S8_S8_S8_S8_S8_EENS0_10empty_typeEEEZZNS1_27merge_sort_block_merge_implIS3_NS6_6detail15normal_iteratorINS6_10device_ptrIS9_EEEEPSA_mNS6_4lessIS9_EEEE10hipError_tT0_T1_T2_jT3_P12ihipStream_tbPNSt15iterator_traitsISM_E10value_typeEPNSS_ISN_E10value_typeEPSO_NS1_7vsmem_tEENKUlT_SM_SN_SO_E_clIPS9_SH_SI_SI_EESL_S11_SM_SN_SO_EUlS11_E1_NS1_11comp_targetILNS1_3genE9ELNS1_11target_archE1100ELNS1_3gpuE3ELNS1_3repE0EEENS1_36merge_oddeven_config_static_selectorELNS0_4arch9wavefront6targetE1EEEvSN_
                                        ; -- End function
	.section	.AMDGPU.csdata,"",@progbits
; Kernel info:
; codeLenInByte = 0
; NumSgprs: 6
; NumVgprs: 0
; NumAgprs: 0
; TotalNumVgprs: 0
; ScratchSize: 0
; MemoryBound: 0
; FloatMode: 240
; IeeeMode: 1
; LDSByteSize: 0 bytes/workgroup (compile time only)
; SGPRBlocks: 0
; VGPRBlocks: 0
; NumSGPRsForWavesPerEU: 6
; NumVGPRsForWavesPerEU: 1
; AccumOffset: 4
; Occupancy: 8
; WaveLimiterHint : 0
; COMPUTE_PGM_RSRC2:SCRATCH_EN: 0
; COMPUTE_PGM_RSRC2:USER_SGPR: 2
; COMPUTE_PGM_RSRC2:TRAP_HANDLER: 0
; COMPUTE_PGM_RSRC2:TGID_X_EN: 1
; COMPUTE_PGM_RSRC2:TGID_Y_EN: 0
; COMPUTE_PGM_RSRC2:TGID_Z_EN: 0
; COMPUTE_PGM_RSRC2:TIDIG_COMP_CNT: 0
; COMPUTE_PGM_RSRC3_GFX90A:ACCUM_OFFSET: 0
; COMPUTE_PGM_RSRC3_GFX90A:TG_SPLIT: 0
	.section	.text._ZN7rocprim17ROCPRIM_400000_NS6detail17trampoline_kernelINS0_14default_configENS1_38merge_sort_block_merge_config_selectorIN6thrust23THRUST_200600_302600_NS5tupleIffNS6_9null_typeES8_S8_S8_S8_S8_S8_S8_EENS0_10empty_typeEEEZZNS1_27merge_sort_block_merge_implIS3_NS6_6detail15normal_iteratorINS6_10device_ptrIS9_EEEEPSA_mNS6_4lessIS9_EEEE10hipError_tT0_T1_T2_jT3_P12ihipStream_tbPNSt15iterator_traitsISM_E10value_typeEPNSS_ISN_E10value_typeEPSO_NS1_7vsmem_tEENKUlT_SM_SN_SO_E_clIPS9_SH_SI_SI_EESL_S11_SM_SN_SO_EUlS11_E1_NS1_11comp_targetILNS1_3genE8ELNS1_11target_archE1030ELNS1_3gpuE2ELNS1_3repE0EEENS1_36merge_oddeven_config_static_selectorELNS0_4arch9wavefront6targetE1EEEvSN_,"axG",@progbits,_ZN7rocprim17ROCPRIM_400000_NS6detail17trampoline_kernelINS0_14default_configENS1_38merge_sort_block_merge_config_selectorIN6thrust23THRUST_200600_302600_NS5tupleIffNS6_9null_typeES8_S8_S8_S8_S8_S8_S8_EENS0_10empty_typeEEEZZNS1_27merge_sort_block_merge_implIS3_NS6_6detail15normal_iteratorINS6_10device_ptrIS9_EEEEPSA_mNS6_4lessIS9_EEEE10hipError_tT0_T1_T2_jT3_P12ihipStream_tbPNSt15iterator_traitsISM_E10value_typeEPNSS_ISN_E10value_typeEPSO_NS1_7vsmem_tEENKUlT_SM_SN_SO_E_clIPS9_SH_SI_SI_EESL_S11_SM_SN_SO_EUlS11_E1_NS1_11comp_targetILNS1_3genE8ELNS1_11target_archE1030ELNS1_3gpuE2ELNS1_3repE0EEENS1_36merge_oddeven_config_static_selectorELNS0_4arch9wavefront6targetE1EEEvSN_,comdat
	.protected	_ZN7rocprim17ROCPRIM_400000_NS6detail17trampoline_kernelINS0_14default_configENS1_38merge_sort_block_merge_config_selectorIN6thrust23THRUST_200600_302600_NS5tupleIffNS6_9null_typeES8_S8_S8_S8_S8_S8_S8_EENS0_10empty_typeEEEZZNS1_27merge_sort_block_merge_implIS3_NS6_6detail15normal_iteratorINS6_10device_ptrIS9_EEEEPSA_mNS6_4lessIS9_EEEE10hipError_tT0_T1_T2_jT3_P12ihipStream_tbPNSt15iterator_traitsISM_E10value_typeEPNSS_ISN_E10value_typeEPSO_NS1_7vsmem_tEENKUlT_SM_SN_SO_E_clIPS9_SH_SI_SI_EESL_S11_SM_SN_SO_EUlS11_E1_NS1_11comp_targetILNS1_3genE8ELNS1_11target_archE1030ELNS1_3gpuE2ELNS1_3repE0EEENS1_36merge_oddeven_config_static_selectorELNS0_4arch9wavefront6targetE1EEEvSN_ ; -- Begin function _ZN7rocprim17ROCPRIM_400000_NS6detail17trampoline_kernelINS0_14default_configENS1_38merge_sort_block_merge_config_selectorIN6thrust23THRUST_200600_302600_NS5tupleIffNS6_9null_typeES8_S8_S8_S8_S8_S8_S8_EENS0_10empty_typeEEEZZNS1_27merge_sort_block_merge_implIS3_NS6_6detail15normal_iteratorINS6_10device_ptrIS9_EEEEPSA_mNS6_4lessIS9_EEEE10hipError_tT0_T1_T2_jT3_P12ihipStream_tbPNSt15iterator_traitsISM_E10value_typeEPNSS_ISN_E10value_typeEPSO_NS1_7vsmem_tEENKUlT_SM_SN_SO_E_clIPS9_SH_SI_SI_EESL_S11_SM_SN_SO_EUlS11_E1_NS1_11comp_targetILNS1_3genE8ELNS1_11target_archE1030ELNS1_3gpuE2ELNS1_3repE0EEENS1_36merge_oddeven_config_static_selectorELNS0_4arch9wavefront6targetE1EEEvSN_
	.globl	_ZN7rocprim17ROCPRIM_400000_NS6detail17trampoline_kernelINS0_14default_configENS1_38merge_sort_block_merge_config_selectorIN6thrust23THRUST_200600_302600_NS5tupleIffNS6_9null_typeES8_S8_S8_S8_S8_S8_S8_EENS0_10empty_typeEEEZZNS1_27merge_sort_block_merge_implIS3_NS6_6detail15normal_iteratorINS6_10device_ptrIS9_EEEEPSA_mNS6_4lessIS9_EEEE10hipError_tT0_T1_T2_jT3_P12ihipStream_tbPNSt15iterator_traitsISM_E10value_typeEPNSS_ISN_E10value_typeEPSO_NS1_7vsmem_tEENKUlT_SM_SN_SO_E_clIPS9_SH_SI_SI_EESL_S11_SM_SN_SO_EUlS11_E1_NS1_11comp_targetILNS1_3genE8ELNS1_11target_archE1030ELNS1_3gpuE2ELNS1_3repE0EEENS1_36merge_oddeven_config_static_selectorELNS0_4arch9wavefront6targetE1EEEvSN_
	.p2align	8
	.type	_ZN7rocprim17ROCPRIM_400000_NS6detail17trampoline_kernelINS0_14default_configENS1_38merge_sort_block_merge_config_selectorIN6thrust23THRUST_200600_302600_NS5tupleIffNS6_9null_typeES8_S8_S8_S8_S8_S8_S8_EENS0_10empty_typeEEEZZNS1_27merge_sort_block_merge_implIS3_NS6_6detail15normal_iteratorINS6_10device_ptrIS9_EEEEPSA_mNS6_4lessIS9_EEEE10hipError_tT0_T1_T2_jT3_P12ihipStream_tbPNSt15iterator_traitsISM_E10value_typeEPNSS_ISN_E10value_typeEPSO_NS1_7vsmem_tEENKUlT_SM_SN_SO_E_clIPS9_SH_SI_SI_EESL_S11_SM_SN_SO_EUlS11_E1_NS1_11comp_targetILNS1_3genE8ELNS1_11target_archE1030ELNS1_3gpuE2ELNS1_3repE0EEENS1_36merge_oddeven_config_static_selectorELNS0_4arch9wavefront6targetE1EEEvSN_,@function
_ZN7rocprim17ROCPRIM_400000_NS6detail17trampoline_kernelINS0_14default_configENS1_38merge_sort_block_merge_config_selectorIN6thrust23THRUST_200600_302600_NS5tupleIffNS6_9null_typeES8_S8_S8_S8_S8_S8_S8_EENS0_10empty_typeEEEZZNS1_27merge_sort_block_merge_implIS3_NS6_6detail15normal_iteratorINS6_10device_ptrIS9_EEEEPSA_mNS6_4lessIS9_EEEE10hipError_tT0_T1_T2_jT3_P12ihipStream_tbPNSt15iterator_traitsISM_E10value_typeEPNSS_ISN_E10value_typeEPSO_NS1_7vsmem_tEENKUlT_SM_SN_SO_E_clIPS9_SH_SI_SI_EESL_S11_SM_SN_SO_EUlS11_E1_NS1_11comp_targetILNS1_3genE8ELNS1_11target_archE1030ELNS1_3gpuE2ELNS1_3repE0EEENS1_36merge_oddeven_config_static_selectorELNS0_4arch9wavefront6targetE1EEEvSN_: ; @_ZN7rocprim17ROCPRIM_400000_NS6detail17trampoline_kernelINS0_14default_configENS1_38merge_sort_block_merge_config_selectorIN6thrust23THRUST_200600_302600_NS5tupleIffNS6_9null_typeES8_S8_S8_S8_S8_S8_S8_EENS0_10empty_typeEEEZZNS1_27merge_sort_block_merge_implIS3_NS6_6detail15normal_iteratorINS6_10device_ptrIS9_EEEEPSA_mNS6_4lessIS9_EEEE10hipError_tT0_T1_T2_jT3_P12ihipStream_tbPNSt15iterator_traitsISM_E10value_typeEPNSS_ISN_E10value_typeEPSO_NS1_7vsmem_tEENKUlT_SM_SN_SO_E_clIPS9_SH_SI_SI_EESL_S11_SM_SN_SO_EUlS11_E1_NS1_11comp_targetILNS1_3genE8ELNS1_11target_archE1030ELNS1_3gpuE2ELNS1_3repE0EEENS1_36merge_oddeven_config_static_selectorELNS0_4arch9wavefront6targetE1EEEvSN_
; %bb.0:
	.section	.rodata,"a",@progbits
	.p2align	6, 0x0
	.amdhsa_kernel _ZN7rocprim17ROCPRIM_400000_NS6detail17trampoline_kernelINS0_14default_configENS1_38merge_sort_block_merge_config_selectorIN6thrust23THRUST_200600_302600_NS5tupleIffNS6_9null_typeES8_S8_S8_S8_S8_S8_S8_EENS0_10empty_typeEEEZZNS1_27merge_sort_block_merge_implIS3_NS6_6detail15normal_iteratorINS6_10device_ptrIS9_EEEEPSA_mNS6_4lessIS9_EEEE10hipError_tT0_T1_T2_jT3_P12ihipStream_tbPNSt15iterator_traitsISM_E10value_typeEPNSS_ISN_E10value_typeEPSO_NS1_7vsmem_tEENKUlT_SM_SN_SO_E_clIPS9_SH_SI_SI_EESL_S11_SM_SN_SO_EUlS11_E1_NS1_11comp_targetILNS1_3genE8ELNS1_11target_archE1030ELNS1_3gpuE2ELNS1_3repE0EEENS1_36merge_oddeven_config_static_selectorELNS0_4arch9wavefront6targetE1EEEvSN_
		.amdhsa_group_segment_fixed_size 0
		.amdhsa_private_segment_fixed_size 0
		.amdhsa_kernarg_size 56
		.amdhsa_user_sgpr_count 2
		.amdhsa_user_sgpr_dispatch_ptr 0
		.amdhsa_user_sgpr_queue_ptr 0
		.amdhsa_user_sgpr_kernarg_segment_ptr 1
		.amdhsa_user_sgpr_dispatch_id 0
		.amdhsa_user_sgpr_kernarg_preload_length 0
		.amdhsa_user_sgpr_kernarg_preload_offset 0
		.amdhsa_user_sgpr_private_segment_size 0
		.amdhsa_uses_dynamic_stack 0
		.amdhsa_enable_private_segment 0
		.amdhsa_system_sgpr_workgroup_id_x 1
		.amdhsa_system_sgpr_workgroup_id_y 0
		.amdhsa_system_sgpr_workgroup_id_z 0
		.amdhsa_system_sgpr_workgroup_info 0
		.amdhsa_system_vgpr_workitem_id 0
		.amdhsa_next_free_vgpr 1
		.amdhsa_next_free_sgpr 0
		.amdhsa_accum_offset 4
		.amdhsa_reserve_vcc 0
		.amdhsa_float_round_mode_32 0
		.amdhsa_float_round_mode_16_64 0
		.amdhsa_float_denorm_mode_32 3
		.amdhsa_float_denorm_mode_16_64 3
		.amdhsa_dx10_clamp 1
		.amdhsa_ieee_mode 1
		.amdhsa_fp16_overflow 0
		.amdhsa_tg_split 0
		.amdhsa_exception_fp_ieee_invalid_op 0
		.amdhsa_exception_fp_denorm_src 0
		.amdhsa_exception_fp_ieee_div_zero 0
		.amdhsa_exception_fp_ieee_overflow 0
		.amdhsa_exception_fp_ieee_underflow 0
		.amdhsa_exception_fp_ieee_inexact 0
		.amdhsa_exception_int_div_zero 0
	.end_amdhsa_kernel
	.section	.text._ZN7rocprim17ROCPRIM_400000_NS6detail17trampoline_kernelINS0_14default_configENS1_38merge_sort_block_merge_config_selectorIN6thrust23THRUST_200600_302600_NS5tupleIffNS6_9null_typeES8_S8_S8_S8_S8_S8_S8_EENS0_10empty_typeEEEZZNS1_27merge_sort_block_merge_implIS3_NS6_6detail15normal_iteratorINS6_10device_ptrIS9_EEEEPSA_mNS6_4lessIS9_EEEE10hipError_tT0_T1_T2_jT3_P12ihipStream_tbPNSt15iterator_traitsISM_E10value_typeEPNSS_ISN_E10value_typeEPSO_NS1_7vsmem_tEENKUlT_SM_SN_SO_E_clIPS9_SH_SI_SI_EESL_S11_SM_SN_SO_EUlS11_E1_NS1_11comp_targetILNS1_3genE8ELNS1_11target_archE1030ELNS1_3gpuE2ELNS1_3repE0EEENS1_36merge_oddeven_config_static_selectorELNS0_4arch9wavefront6targetE1EEEvSN_,"axG",@progbits,_ZN7rocprim17ROCPRIM_400000_NS6detail17trampoline_kernelINS0_14default_configENS1_38merge_sort_block_merge_config_selectorIN6thrust23THRUST_200600_302600_NS5tupleIffNS6_9null_typeES8_S8_S8_S8_S8_S8_S8_EENS0_10empty_typeEEEZZNS1_27merge_sort_block_merge_implIS3_NS6_6detail15normal_iteratorINS6_10device_ptrIS9_EEEEPSA_mNS6_4lessIS9_EEEE10hipError_tT0_T1_T2_jT3_P12ihipStream_tbPNSt15iterator_traitsISM_E10value_typeEPNSS_ISN_E10value_typeEPSO_NS1_7vsmem_tEENKUlT_SM_SN_SO_E_clIPS9_SH_SI_SI_EESL_S11_SM_SN_SO_EUlS11_E1_NS1_11comp_targetILNS1_3genE8ELNS1_11target_archE1030ELNS1_3gpuE2ELNS1_3repE0EEENS1_36merge_oddeven_config_static_selectorELNS0_4arch9wavefront6targetE1EEEvSN_,comdat
.Lfunc_end50:
	.size	_ZN7rocprim17ROCPRIM_400000_NS6detail17trampoline_kernelINS0_14default_configENS1_38merge_sort_block_merge_config_selectorIN6thrust23THRUST_200600_302600_NS5tupleIffNS6_9null_typeES8_S8_S8_S8_S8_S8_S8_EENS0_10empty_typeEEEZZNS1_27merge_sort_block_merge_implIS3_NS6_6detail15normal_iteratorINS6_10device_ptrIS9_EEEEPSA_mNS6_4lessIS9_EEEE10hipError_tT0_T1_T2_jT3_P12ihipStream_tbPNSt15iterator_traitsISM_E10value_typeEPNSS_ISN_E10value_typeEPSO_NS1_7vsmem_tEENKUlT_SM_SN_SO_E_clIPS9_SH_SI_SI_EESL_S11_SM_SN_SO_EUlS11_E1_NS1_11comp_targetILNS1_3genE8ELNS1_11target_archE1030ELNS1_3gpuE2ELNS1_3repE0EEENS1_36merge_oddeven_config_static_selectorELNS0_4arch9wavefront6targetE1EEEvSN_, .Lfunc_end50-_ZN7rocprim17ROCPRIM_400000_NS6detail17trampoline_kernelINS0_14default_configENS1_38merge_sort_block_merge_config_selectorIN6thrust23THRUST_200600_302600_NS5tupleIffNS6_9null_typeES8_S8_S8_S8_S8_S8_S8_EENS0_10empty_typeEEEZZNS1_27merge_sort_block_merge_implIS3_NS6_6detail15normal_iteratorINS6_10device_ptrIS9_EEEEPSA_mNS6_4lessIS9_EEEE10hipError_tT0_T1_T2_jT3_P12ihipStream_tbPNSt15iterator_traitsISM_E10value_typeEPNSS_ISN_E10value_typeEPSO_NS1_7vsmem_tEENKUlT_SM_SN_SO_E_clIPS9_SH_SI_SI_EESL_S11_SM_SN_SO_EUlS11_E1_NS1_11comp_targetILNS1_3genE8ELNS1_11target_archE1030ELNS1_3gpuE2ELNS1_3repE0EEENS1_36merge_oddeven_config_static_selectorELNS0_4arch9wavefront6targetE1EEEvSN_
                                        ; -- End function
	.section	.AMDGPU.csdata,"",@progbits
; Kernel info:
; codeLenInByte = 0
; NumSgprs: 6
; NumVgprs: 0
; NumAgprs: 0
; TotalNumVgprs: 0
; ScratchSize: 0
; MemoryBound: 0
; FloatMode: 240
; IeeeMode: 1
; LDSByteSize: 0 bytes/workgroup (compile time only)
; SGPRBlocks: 0
; VGPRBlocks: 0
; NumSGPRsForWavesPerEU: 6
; NumVGPRsForWavesPerEU: 1
; AccumOffset: 4
; Occupancy: 8
; WaveLimiterHint : 0
; COMPUTE_PGM_RSRC2:SCRATCH_EN: 0
; COMPUTE_PGM_RSRC2:USER_SGPR: 2
; COMPUTE_PGM_RSRC2:TRAP_HANDLER: 0
; COMPUTE_PGM_RSRC2:TGID_X_EN: 1
; COMPUTE_PGM_RSRC2:TGID_Y_EN: 0
; COMPUTE_PGM_RSRC2:TGID_Z_EN: 0
; COMPUTE_PGM_RSRC2:TIDIG_COMP_CNT: 0
; COMPUTE_PGM_RSRC3_GFX90A:ACCUM_OFFSET: 0
; COMPUTE_PGM_RSRC3_GFX90A:TG_SPLIT: 0
	.section	.text._ZN7rocprim17ROCPRIM_400000_NS6detail17trampoline_kernelINS0_14default_configENS1_38merge_sort_block_merge_config_selectorIN6thrust23THRUST_200600_302600_NS5tupleIffNS6_9null_typeES8_S8_S8_S8_S8_S8_S8_EENS0_10empty_typeEEEZZNS1_27merge_sort_block_merge_implIS3_NS6_6detail15normal_iteratorINS6_10device_ptrIS9_EEEEPSA_mNS6_4lessIS9_EEEE10hipError_tT0_T1_T2_jT3_P12ihipStream_tbPNSt15iterator_traitsISM_E10value_typeEPNSS_ISN_E10value_typeEPSO_NS1_7vsmem_tEENKUlT_SM_SN_SO_E_clISH_PS9_SI_SI_EESL_S11_SM_SN_SO_EUlS11_E_NS1_11comp_targetILNS1_3genE0ELNS1_11target_archE4294967295ELNS1_3gpuE0ELNS1_3repE0EEENS1_48merge_mergepath_partition_config_static_selectorELNS0_4arch9wavefront6targetE1EEEvSN_,"axG",@progbits,_ZN7rocprim17ROCPRIM_400000_NS6detail17trampoline_kernelINS0_14default_configENS1_38merge_sort_block_merge_config_selectorIN6thrust23THRUST_200600_302600_NS5tupleIffNS6_9null_typeES8_S8_S8_S8_S8_S8_S8_EENS0_10empty_typeEEEZZNS1_27merge_sort_block_merge_implIS3_NS6_6detail15normal_iteratorINS6_10device_ptrIS9_EEEEPSA_mNS6_4lessIS9_EEEE10hipError_tT0_T1_T2_jT3_P12ihipStream_tbPNSt15iterator_traitsISM_E10value_typeEPNSS_ISN_E10value_typeEPSO_NS1_7vsmem_tEENKUlT_SM_SN_SO_E_clISH_PS9_SI_SI_EESL_S11_SM_SN_SO_EUlS11_E_NS1_11comp_targetILNS1_3genE0ELNS1_11target_archE4294967295ELNS1_3gpuE0ELNS1_3repE0EEENS1_48merge_mergepath_partition_config_static_selectorELNS0_4arch9wavefront6targetE1EEEvSN_,comdat
	.protected	_ZN7rocprim17ROCPRIM_400000_NS6detail17trampoline_kernelINS0_14default_configENS1_38merge_sort_block_merge_config_selectorIN6thrust23THRUST_200600_302600_NS5tupleIffNS6_9null_typeES8_S8_S8_S8_S8_S8_S8_EENS0_10empty_typeEEEZZNS1_27merge_sort_block_merge_implIS3_NS6_6detail15normal_iteratorINS6_10device_ptrIS9_EEEEPSA_mNS6_4lessIS9_EEEE10hipError_tT0_T1_T2_jT3_P12ihipStream_tbPNSt15iterator_traitsISM_E10value_typeEPNSS_ISN_E10value_typeEPSO_NS1_7vsmem_tEENKUlT_SM_SN_SO_E_clISH_PS9_SI_SI_EESL_S11_SM_SN_SO_EUlS11_E_NS1_11comp_targetILNS1_3genE0ELNS1_11target_archE4294967295ELNS1_3gpuE0ELNS1_3repE0EEENS1_48merge_mergepath_partition_config_static_selectorELNS0_4arch9wavefront6targetE1EEEvSN_ ; -- Begin function _ZN7rocprim17ROCPRIM_400000_NS6detail17trampoline_kernelINS0_14default_configENS1_38merge_sort_block_merge_config_selectorIN6thrust23THRUST_200600_302600_NS5tupleIffNS6_9null_typeES8_S8_S8_S8_S8_S8_S8_EENS0_10empty_typeEEEZZNS1_27merge_sort_block_merge_implIS3_NS6_6detail15normal_iteratorINS6_10device_ptrIS9_EEEEPSA_mNS6_4lessIS9_EEEE10hipError_tT0_T1_T2_jT3_P12ihipStream_tbPNSt15iterator_traitsISM_E10value_typeEPNSS_ISN_E10value_typeEPSO_NS1_7vsmem_tEENKUlT_SM_SN_SO_E_clISH_PS9_SI_SI_EESL_S11_SM_SN_SO_EUlS11_E_NS1_11comp_targetILNS1_3genE0ELNS1_11target_archE4294967295ELNS1_3gpuE0ELNS1_3repE0EEENS1_48merge_mergepath_partition_config_static_selectorELNS0_4arch9wavefront6targetE1EEEvSN_
	.globl	_ZN7rocprim17ROCPRIM_400000_NS6detail17trampoline_kernelINS0_14default_configENS1_38merge_sort_block_merge_config_selectorIN6thrust23THRUST_200600_302600_NS5tupleIffNS6_9null_typeES8_S8_S8_S8_S8_S8_S8_EENS0_10empty_typeEEEZZNS1_27merge_sort_block_merge_implIS3_NS6_6detail15normal_iteratorINS6_10device_ptrIS9_EEEEPSA_mNS6_4lessIS9_EEEE10hipError_tT0_T1_T2_jT3_P12ihipStream_tbPNSt15iterator_traitsISM_E10value_typeEPNSS_ISN_E10value_typeEPSO_NS1_7vsmem_tEENKUlT_SM_SN_SO_E_clISH_PS9_SI_SI_EESL_S11_SM_SN_SO_EUlS11_E_NS1_11comp_targetILNS1_3genE0ELNS1_11target_archE4294967295ELNS1_3gpuE0ELNS1_3repE0EEENS1_48merge_mergepath_partition_config_static_selectorELNS0_4arch9wavefront6targetE1EEEvSN_
	.p2align	8
	.type	_ZN7rocprim17ROCPRIM_400000_NS6detail17trampoline_kernelINS0_14default_configENS1_38merge_sort_block_merge_config_selectorIN6thrust23THRUST_200600_302600_NS5tupleIffNS6_9null_typeES8_S8_S8_S8_S8_S8_S8_EENS0_10empty_typeEEEZZNS1_27merge_sort_block_merge_implIS3_NS6_6detail15normal_iteratorINS6_10device_ptrIS9_EEEEPSA_mNS6_4lessIS9_EEEE10hipError_tT0_T1_T2_jT3_P12ihipStream_tbPNSt15iterator_traitsISM_E10value_typeEPNSS_ISN_E10value_typeEPSO_NS1_7vsmem_tEENKUlT_SM_SN_SO_E_clISH_PS9_SI_SI_EESL_S11_SM_SN_SO_EUlS11_E_NS1_11comp_targetILNS1_3genE0ELNS1_11target_archE4294967295ELNS1_3gpuE0ELNS1_3repE0EEENS1_48merge_mergepath_partition_config_static_selectorELNS0_4arch9wavefront6targetE1EEEvSN_,@function
_ZN7rocprim17ROCPRIM_400000_NS6detail17trampoline_kernelINS0_14default_configENS1_38merge_sort_block_merge_config_selectorIN6thrust23THRUST_200600_302600_NS5tupleIffNS6_9null_typeES8_S8_S8_S8_S8_S8_S8_EENS0_10empty_typeEEEZZNS1_27merge_sort_block_merge_implIS3_NS6_6detail15normal_iteratorINS6_10device_ptrIS9_EEEEPSA_mNS6_4lessIS9_EEEE10hipError_tT0_T1_T2_jT3_P12ihipStream_tbPNSt15iterator_traitsISM_E10value_typeEPNSS_ISN_E10value_typeEPSO_NS1_7vsmem_tEENKUlT_SM_SN_SO_E_clISH_PS9_SI_SI_EESL_S11_SM_SN_SO_EUlS11_E_NS1_11comp_targetILNS1_3genE0ELNS1_11target_archE4294967295ELNS1_3gpuE0ELNS1_3repE0EEENS1_48merge_mergepath_partition_config_static_selectorELNS0_4arch9wavefront6targetE1EEEvSN_: ; @_ZN7rocprim17ROCPRIM_400000_NS6detail17trampoline_kernelINS0_14default_configENS1_38merge_sort_block_merge_config_selectorIN6thrust23THRUST_200600_302600_NS5tupleIffNS6_9null_typeES8_S8_S8_S8_S8_S8_S8_EENS0_10empty_typeEEEZZNS1_27merge_sort_block_merge_implIS3_NS6_6detail15normal_iteratorINS6_10device_ptrIS9_EEEEPSA_mNS6_4lessIS9_EEEE10hipError_tT0_T1_T2_jT3_P12ihipStream_tbPNSt15iterator_traitsISM_E10value_typeEPNSS_ISN_E10value_typeEPSO_NS1_7vsmem_tEENKUlT_SM_SN_SO_E_clISH_PS9_SI_SI_EESL_S11_SM_SN_SO_EUlS11_E_NS1_11comp_targetILNS1_3genE0ELNS1_11target_archE4294967295ELNS1_3gpuE0ELNS1_3repE0EEENS1_48merge_mergepath_partition_config_static_selectorELNS0_4arch9wavefront6targetE1EEEvSN_
; %bb.0:
	.section	.rodata,"a",@progbits
	.p2align	6, 0x0
	.amdhsa_kernel _ZN7rocprim17ROCPRIM_400000_NS6detail17trampoline_kernelINS0_14default_configENS1_38merge_sort_block_merge_config_selectorIN6thrust23THRUST_200600_302600_NS5tupleIffNS6_9null_typeES8_S8_S8_S8_S8_S8_S8_EENS0_10empty_typeEEEZZNS1_27merge_sort_block_merge_implIS3_NS6_6detail15normal_iteratorINS6_10device_ptrIS9_EEEEPSA_mNS6_4lessIS9_EEEE10hipError_tT0_T1_T2_jT3_P12ihipStream_tbPNSt15iterator_traitsISM_E10value_typeEPNSS_ISN_E10value_typeEPSO_NS1_7vsmem_tEENKUlT_SM_SN_SO_E_clISH_PS9_SI_SI_EESL_S11_SM_SN_SO_EUlS11_E_NS1_11comp_targetILNS1_3genE0ELNS1_11target_archE4294967295ELNS1_3gpuE0ELNS1_3repE0EEENS1_48merge_mergepath_partition_config_static_selectorELNS0_4arch9wavefront6targetE1EEEvSN_
		.amdhsa_group_segment_fixed_size 0
		.amdhsa_private_segment_fixed_size 0
		.amdhsa_kernarg_size 48
		.amdhsa_user_sgpr_count 2
		.amdhsa_user_sgpr_dispatch_ptr 0
		.amdhsa_user_sgpr_queue_ptr 0
		.amdhsa_user_sgpr_kernarg_segment_ptr 1
		.amdhsa_user_sgpr_dispatch_id 0
		.amdhsa_user_sgpr_kernarg_preload_length 0
		.amdhsa_user_sgpr_kernarg_preload_offset 0
		.amdhsa_user_sgpr_private_segment_size 0
		.amdhsa_uses_dynamic_stack 0
		.amdhsa_enable_private_segment 0
		.amdhsa_system_sgpr_workgroup_id_x 1
		.amdhsa_system_sgpr_workgroup_id_y 0
		.amdhsa_system_sgpr_workgroup_id_z 0
		.amdhsa_system_sgpr_workgroup_info 0
		.amdhsa_system_vgpr_workitem_id 0
		.amdhsa_next_free_vgpr 1
		.amdhsa_next_free_sgpr 0
		.amdhsa_accum_offset 4
		.amdhsa_reserve_vcc 0
		.amdhsa_float_round_mode_32 0
		.amdhsa_float_round_mode_16_64 0
		.amdhsa_float_denorm_mode_32 3
		.amdhsa_float_denorm_mode_16_64 3
		.amdhsa_dx10_clamp 1
		.amdhsa_ieee_mode 1
		.amdhsa_fp16_overflow 0
		.amdhsa_tg_split 0
		.amdhsa_exception_fp_ieee_invalid_op 0
		.amdhsa_exception_fp_denorm_src 0
		.amdhsa_exception_fp_ieee_div_zero 0
		.amdhsa_exception_fp_ieee_overflow 0
		.amdhsa_exception_fp_ieee_underflow 0
		.amdhsa_exception_fp_ieee_inexact 0
		.amdhsa_exception_int_div_zero 0
	.end_amdhsa_kernel
	.section	.text._ZN7rocprim17ROCPRIM_400000_NS6detail17trampoline_kernelINS0_14default_configENS1_38merge_sort_block_merge_config_selectorIN6thrust23THRUST_200600_302600_NS5tupleIffNS6_9null_typeES8_S8_S8_S8_S8_S8_S8_EENS0_10empty_typeEEEZZNS1_27merge_sort_block_merge_implIS3_NS6_6detail15normal_iteratorINS6_10device_ptrIS9_EEEEPSA_mNS6_4lessIS9_EEEE10hipError_tT0_T1_T2_jT3_P12ihipStream_tbPNSt15iterator_traitsISM_E10value_typeEPNSS_ISN_E10value_typeEPSO_NS1_7vsmem_tEENKUlT_SM_SN_SO_E_clISH_PS9_SI_SI_EESL_S11_SM_SN_SO_EUlS11_E_NS1_11comp_targetILNS1_3genE0ELNS1_11target_archE4294967295ELNS1_3gpuE0ELNS1_3repE0EEENS1_48merge_mergepath_partition_config_static_selectorELNS0_4arch9wavefront6targetE1EEEvSN_,"axG",@progbits,_ZN7rocprim17ROCPRIM_400000_NS6detail17trampoline_kernelINS0_14default_configENS1_38merge_sort_block_merge_config_selectorIN6thrust23THRUST_200600_302600_NS5tupleIffNS6_9null_typeES8_S8_S8_S8_S8_S8_S8_EENS0_10empty_typeEEEZZNS1_27merge_sort_block_merge_implIS3_NS6_6detail15normal_iteratorINS6_10device_ptrIS9_EEEEPSA_mNS6_4lessIS9_EEEE10hipError_tT0_T1_T2_jT3_P12ihipStream_tbPNSt15iterator_traitsISM_E10value_typeEPNSS_ISN_E10value_typeEPSO_NS1_7vsmem_tEENKUlT_SM_SN_SO_E_clISH_PS9_SI_SI_EESL_S11_SM_SN_SO_EUlS11_E_NS1_11comp_targetILNS1_3genE0ELNS1_11target_archE4294967295ELNS1_3gpuE0ELNS1_3repE0EEENS1_48merge_mergepath_partition_config_static_selectorELNS0_4arch9wavefront6targetE1EEEvSN_,comdat
.Lfunc_end51:
	.size	_ZN7rocprim17ROCPRIM_400000_NS6detail17trampoline_kernelINS0_14default_configENS1_38merge_sort_block_merge_config_selectorIN6thrust23THRUST_200600_302600_NS5tupleIffNS6_9null_typeES8_S8_S8_S8_S8_S8_S8_EENS0_10empty_typeEEEZZNS1_27merge_sort_block_merge_implIS3_NS6_6detail15normal_iteratorINS6_10device_ptrIS9_EEEEPSA_mNS6_4lessIS9_EEEE10hipError_tT0_T1_T2_jT3_P12ihipStream_tbPNSt15iterator_traitsISM_E10value_typeEPNSS_ISN_E10value_typeEPSO_NS1_7vsmem_tEENKUlT_SM_SN_SO_E_clISH_PS9_SI_SI_EESL_S11_SM_SN_SO_EUlS11_E_NS1_11comp_targetILNS1_3genE0ELNS1_11target_archE4294967295ELNS1_3gpuE0ELNS1_3repE0EEENS1_48merge_mergepath_partition_config_static_selectorELNS0_4arch9wavefront6targetE1EEEvSN_, .Lfunc_end51-_ZN7rocprim17ROCPRIM_400000_NS6detail17trampoline_kernelINS0_14default_configENS1_38merge_sort_block_merge_config_selectorIN6thrust23THRUST_200600_302600_NS5tupleIffNS6_9null_typeES8_S8_S8_S8_S8_S8_S8_EENS0_10empty_typeEEEZZNS1_27merge_sort_block_merge_implIS3_NS6_6detail15normal_iteratorINS6_10device_ptrIS9_EEEEPSA_mNS6_4lessIS9_EEEE10hipError_tT0_T1_T2_jT3_P12ihipStream_tbPNSt15iterator_traitsISM_E10value_typeEPNSS_ISN_E10value_typeEPSO_NS1_7vsmem_tEENKUlT_SM_SN_SO_E_clISH_PS9_SI_SI_EESL_S11_SM_SN_SO_EUlS11_E_NS1_11comp_targetILNS1_3genE0ELNS1_11target_archE4294967295ELNS1_3gpuE0ELNS1_3repE0EEENS1_48merge_mergepath_partition_config_static_selectorELNS0_4arch9wavefront6targetE1EEEvSN_
                                        ; -- End function
	.section	.AMDGPU.csdata,"",@progbits
; Kernel info:
; codeLenInByte = 0
; NumSgprs: 6
; NumVgprs: 0
; NumAgprs: 0
; TotalNumVgprs: 0
; ScratchSize: 0
; MemoryBound: 0
; FloatMode: 240
; IeeeMode: 1
; LDSByteSize: 0 bytes/workgroup (compile time only)
; SGPRBlocks: 0
; VGPRBlocks: 0
; NumSGPRsForWavesPerEU: 6
; NumVGPRsForWavesPerEU: 1
; AccumOffset: 4
; Occupancy: 8
; WaveLimiterHint : 0
; COMPUTE_PGM_RSRC2:SCRATCH_EN: 0
; COMPUTE_PGM_RSRC2:USER_SGPR: 2
; COMPUTE_PGM_RSRC2:TRAP_HANDLER: 0
; COMPUTE_PGM_RSRC2:TGID_X_EN: 1
; COMPUTE_PGM_RSRC2:TGID_Y_EN: 0
; COMPUTE_PGM_RSRC2:TGID_Z_EN: 0
; COMPUTE_PGM_RSRC2:TIDIG_COMP_CNT: 0
; COMPUTE_PGM_RSRC3_GFX90A:ACCUM_OFFSET: 0
; COMPUTE_PGM_RSRC3_GFX90A:TG_SPLIT: 0
	.section	.text._ZN7rocprim17ROCPRIM_400000_NS6detail17trampoline_kernelINS0_14default_configENS1_38merge_sort_block_merge_config_selectorIN6thrust23THRUST_200600_302600_NS5tupleIffNS6_9null_typeES8_S8_S8_S8_S8_S8_S8_EENS0_10empty_typeEEEZZNS1_27merge_sort_block_merge_implIS3_NS6_6detail15normal_iteratorINS6_10device_ptrIS9_EEEEPSA_mNS6_4lessIS9_EEEE10hipError_tT0_T1_T2_jT3_P12ihipStream_tbPNSt15iterator_traitsISM_E10value_typeEPNSS_ISN_E10value_typeEPSO_NS1_7vsmem_tEENKUlT_SM_SN_SO_E_clISH_PS9_SI_SI_EESL_S11_SM_SN_SO_EUlS11_E_NS1_11comp_targetILNS1_3genE10ELNS1_11target_archE1201ELNS1_3gpuE5ELNS1_3repE0EEENS1_48merge_mergepath_partition_config_static_selectorELNS0_4arch9wavefront6targetE1EEEvSN_,"axG",@progbits,_ZN7rocprim17ROCPRIM_400000_NS6detail17trampoline_kernelINS0_14default_configENS1_38merge_sort_block_merge_config_selectorIN6thrust23THRUST_200600_302600_NS5tupleIffNS6_9null_typeES8_S8_S8_S8_S8_S8_S8_EENS0_10empty_typeEEEZZNS1_27merge_sort_block_merge_implIS3_NS6_6detail15normal_iteratorINS6_10device_ptrIS9_EEEEPSA_mNS6_4lessIS9_EEEE10hipError_tT0_T1_T2_jT3_P12ihipStream_tbPNSt15iterator_traitsISM_E10value_typeEPNSS_ISN_E10value_typeEPSO_NS1_7vsmem_tEENKUlT_SM_SN_SO_E_clISH_PS9_SI_SI_EESL_S11_SM_SN_SO_EUlS11_E_NS1_11comp_targetILNS1_3genE10ELNS1_11target_archE1201ELNS1_3gpuE5ELNS1_3repE0EEENS1_48merge_mergepath_partition_config_static_selectorELNS0_4arch9wavefront6targetE1EEEvSN_,comdat
	.protected	_ZN7rocprim17ROCPRIM_400000_NS6detail17trampoline_kernelINS0_14default_configENS1_38merge_sort_block_merge_config_selectorIN6thrust23THRUST_200600_302600_NS5tupleIffNS6_9null_typeES8_S8_S8_S8_S8_S8_S8_EENS0_10empty_typeEEEZZNS1_27merge_sort_block_merge_implIS3_NS6_6detail15normal_iteratorINS6_10device_ptrIS9_EEEEPSA_mNS6_4lessIS9_EEEE10hipError_tT0_T1_T2_jT3_P12ihipStream_tbPNSt15iterator_traitsISM_E10value_typeEPNSS_ISN_E10value_typeEPSO_NS1_7vsmem_tEENKUlT_SM_SN_SO_E_clISH_PS9_SI_SI_EESL_S11_SM_SN_SO_EUlS11_E_NS1_11comp_targetILNS1_3genE10ELNS1_11target_archE1201ELNS1_3gpuE5ELNS1_3repE0EEENS1_48merge_mergepath_partition_config_static_selectorELNS0_4arch9wavefront6targetE1EEEvSN_ ; -- Begin function _ZN7rocprim17ROCPRIM_400000_NS6detail17trampoline_kernelINS0_14default_configENS1_38merge_sort_block_merge_config_selectorIN6thrust23THRUST_200600_302600_NS5tupleIffNS6_9null_typeES8_S8_S8_S8_S8_S8_S8_EENS0_10empty_typeEEEZZNS1_27merge_sort_block_merge_implIS3_NS6_6detail15normal_iteratorINS6_10device_ptrIS9_EEEEPSA_mNS6_4lessIS9_EEEE10hipError_tT0_T1_T2_jT3_P12ihipStream_tbPNSt15iterator_traitsISM_E10value_typeEPNSS_ISN_E10value_typeEPSO_NS1_7vsmem_tEENKUlT_SM_SN_SO_E_clISH_PS9_SI_SI_EESL_S11_SM_SN_SO_EUlS11_E_NS1_11comp_targetILNS1_3genE10ELNS1_11target_archE1201ELNS1_3gpuE5ELNS1_3repE0EEENS1_48merge_mergepath_partition_config_static_selectorELNS0_4arch9wavefront6targetE1EEEvSN_
	.globl	_ZN7rocprim17ROCPRIM_400000_NS6detail17trampoline_kernelINS0_14default_configENS1_38merge_sort_block_merge_config_selectorIN6thrust23THRUST_200600_302600_NS5tupleIffNS6_9null_typeES8_S8_S8_S8_S8_S8_S8_EENS0_10empty_typeEEEZZNS1_27merge_sort_block_merge_implIS3_NS6_6detail15normal_iteratorINS6_10device_ptrIS9_EEEEPSA_mNS6_4lessIS9_EEEE10hipError_tT0_T1_T2_jT3_P12ihipStream_tbPNSt15iterator_traitsISM_E10value_typeEPNSS_ISN_E10value_typeEPSO_NS1_7vsmem_tEENKUlT_SM_SN_SO_E_clISH_PS9_SI_SI_EESL_S11_SM_SN_SO_EUlS11_E_NS1_11comp_targetILNS1_3genE10ELNS1_11target_archE1201ELNS1_3gpuE5ELNS1_3repE0EEENS1_48merge_mergepath_partition_config_static_selectorELNS0_4arch9wavefront6targetE1EEEvSN_
	.p2align	8
	.type	_ZN7rocprim17ROCPRIM_400000_NS6detail17trampoline_kernelINS0_14default_configENS1_38merge_sort_block_merge_config_selectorIN6thrust23THRUST_200600_302600_NS5tupleIffNS6_9null_typeES8_S8_S8_S8_S8_S8_S8_EENS0_10empty_typeEEEZZNS1_27merge_sort_block_merge_implIS3_NS6_6detail15normal_iteratorINS6_10device_ptrIS9_EEEEPSA_mNS6_4lessIS9_EEEE10hipError_tT0_T1_T2_jT3_P12ihipStream_tbPNSt15iterator_traitsISM_E10value_typeEPNSS_ISN_E10value_typeEPSO_NS1_7vsmem_tEENKUlT_SM_SN_SO_E_clISH_PS9_SI_SI_EESL_S11_SM_SN_SO_EUlS11_E_NS1_11comp_targetILNS1_3genE10ELNS1_11target_archE1201ELNS1_3gpuE5ELNS1_3repE0EEENS1_48merge_mergepath_partition_config_static_selectorELNS0_4arch9wavefront6targetE1EEEvSN_,@function
_ZN7rocprim17ROCPRIM_400000_NS6detail17trampoline_kernelINS0_14default_configENS1_38merge_sort_block_merge_config_selectorIN6thrust23THRUST_200600_302600_NS5tupleIffNS6_9null_typeES8_S8_S8_S8_S8_S8_S8_EENS0_10empty_typeEEEZZNS1_27merge_sort_block_merge_implIS3_NS6_6detail15normal_iteratorINS6_10device_ptrIS9_EEEEPSA_mNS6_4lessIS9_EEEE10hipError_tT0_T1_T2_jT3_P12ihipStream_tbPNSt15iterator_traitsISM_E10value_typeEPNSS_ISN_E10value_typeEPSO_NS1_7vsmem_tEENKUlT_SM_SN_SO_E_clISH_PS9_SI_SI_EESL_S11_SM_SN_SO_EUlS11_E_NS1_11comp_targetILNS1_3genE10ELNS1_11target_archE1201ELNS1_3gpuE5ELNS1_3repE0EEENS1_48merge_mergepath_partition_config_static_selectorELNS0_4arch9wavefront6targetE1EEEvSN_: ; @_ZN7rocprim17ROCPRIM_400000_NS6detail17trampoline_kernelINS0_14default_configENS1_38merge_sort_block_merge_config_selectorIN6thrust23THRUST_200600_302600_NS5tupleIffNS6_9null_typeES8_S8_S8_S8_S8_S8_S8_EENS0_10empty_typeEEEZZNS1_27merge_sort_block_merge_implIS3_NS6_6detail15normal_iteratorINS6_10device_ptrIS9_EEEEPSA_mNS6_4lessIS9_EEEE10hipError_tT0_T1_T2_jT3_P12ihipStream_tbPNSt15iterator_traitsISM_E10value_typeEPNSS_ISN_E10value_typeEPSO_NS1_7vsmem_tEENKUlT_SM_SN_SO_E_clISH_PS9_SI_SI_EESL_S11_SM_SN_SO_EUlS11_E_NS1_11comp_targetILNS1_3genE10ELNS1_11target_archE1201ELNS1_3gpuE5ELNS1_3repE0EEENS1_48merge_mergepath_partition_config_static_selectorELNS0_4arch9wavefront6targetE1EEEvSN_
; %bb.0:
	.section	.rodata,"a",@progbits
	.p2align	6, 0x0
	.amdhsa_kernel _ZN7rocprim17ROCPRIM_400000_NS6detail17trampoline_kernelINS0_14default_configENS1_38merge_sort_block_merge_config_selectorIN6thrust23THRUST_200600_302600_NS5tupleIffNS6_9null_typeES8_S8_S8_S8_S8_S8_S8_EENS0_10empty_typeEEEZZNS1_27merge_sort_block_merge_implIS3_NS6_6detail15normal_iteratorINS6_10device_ptrIS9_EEEEPSA_mNS6_4lessIS9_EEEE10hipError_tT0_T1_T2_jT3_P12ihipStream_tbPNSt15iterator_traitsISM_E10value_typeEPNSS_ISN_E10value_typeEPSO_NS1_7vsmem_tEENKUlT_SM_SN_SO_E_clISH_PS9_SI_SI_EESL_S11_SM_SN_SO_EUlS11_E_NS1_11comp_targetILNS1_3genE10ELNS1_11target_archE1201ELNS1_3gpuE5ELNS1_3repE0EEENS1_48merge_mergepath_partition_config_static_selectorELNS0_4arch9wavefront6targetE1EEEvSN_
		.amdhsa_group_segment_fixed_size 0
		.amdhsa_private_segment_fixed_size 0
		.amdhsa_kernarg_size 48
		.amdhsa_user_sgpr_count 2
		.amdhsa_user_sgpr_dispatch_ptr 0
		.amdhsa_user_sgpr_queue_ptr 0
		.amdhsa_user_sgpr_kernarg_segment_ptr 1
		.amdhsa_user_sgpr_dispatch_id 0
		.amdhsa_user_sgpr_kernarg_preload_length 0
		.amdhsa_user_sgpr_kernarg_preload_offset 0
		.amdhsa_user_sgpr_private_segment_size 0
		.amdhsa_uses_dynamic_stack 0
		.amdhsa_enable_private_segment 0
		.amdhsa_system_sgpr_workgroup_id_x 1
		.amdhsa_system_sgpr_workgroup_id_y 0
		.amdhsa_system_sgpr_workgroup_id_z 0
		.amdhsa_system_sgpr_workgroup_info 0
		.amdhsa_system_vgpr_workitem_id 0
		.amdhsa_next_free_vgpr 1
		.amdhsa_next_free_sgpr 0
		.amdhsa_accum_offset 4
		.amdhsa_reserve_vcc 0
		.amdhsa_float_round_mode_32 0
		.amdhsa_float_round_mode_16_64 0
		.amdhsa_float_denorm_mode_32 3
		.amdhsa_float_denorm_mode_16_64 3
		.amdhsa_dx10_clamp 1
		.amdhsa_ieee_mode 1
		.amdhsa_fp16_overflow 0
		.amdhsa_tg_split 0
		.amdhsa_exception_fp_ieee_invalid_op 0
		.amdhsa_exception_fp_denorm_src 0
		.amdhsa_exception_fp_ieee_div_zero 0
		.amdhsa_exception_fp_ieee_overflow 0
		.amdhsa_exception_fp_ieee_underflow 0
		.amdhsa_exception_fp_ieee_inexact 0
		.amdhsa_exception_int_div_zero 0
	.end_amdhsa_kernel
	.section	.text._ZN7rocprim17ROCPRIM_400000_NS6detail17trampoline_kernelINS0_14default_configENS1_38merge_sort_block_merge_config_selectorIN6thrust23THRUST_200600_302600_NS5tupleIffNS6_9null_typeES8_S8_S8_S8_S8_S8_S8_EENS0_10empty_typeEEEZZNS1_27merge_sort_block_merge_implIS3_NS6_6detail15normal_iteratorINS6_10device_ptrIS9_EEEEPSA_mNS6_4lessIS9_EEEE10hipError_tT0_T1_T2_jT3_P12ihipStream_tbPNSt15iterator_traitsISM_E10value_typeEPNSS_ISN_E10value_typeEPSO_NS1_7vsmem_tEENKUlT_SM_SN_SO_E_clISH_PS9_SI_SI_EESL_S11_SM_SN_SO_EUlS11_E_NS1_11comp_targetILNS1_3genE10ELNS1_11target_archE1201ELNS1_3gpuE5ELNS1_3repE0EEENS1_48merge_mergepath_partition_config_static_selectorELNS0_4arch9wavefront6targetE1EEEvSN_,"axG",@progbits,_ZN7rocprim17ROCPRIM_400000_NS6detail17trampoline_kernelINS0_14default_configENS1_38merge_sort_block_merge_config_selectorIN6thrust23THRUST_200600_302600_NS5tupleIffNS6_9null_typeES8_S8_S8_S8_S8_S8_S8_EENS0_10empty_typeEEEZZNS1_27merge_sort_block_merge_implIS3_NS6_6detail15normal_iteratorINS6_10device_ptrIS9_EEEEPSA_mNS6_4lessIS9_EEEE10hipError_tT0_T1_T2_jT3_P12ihipStream_tbPNSt15iterator_traitsISM_E10value_typeEPNSS_ISN_E10value_typeEPSO_NS1_7vsmem_tEENKUlT_SM_SN_SO_E_clISH_PS9_SI_SI_EESL_S11_SM_SN_SO_EUlS11_E_NS1_11comp_targetILNS1_3genE10ELNS1_11target_archE1201ELNS1_3gpuE5ELNS1_3repE0EEENS1_48merge_mergepath_partition_config_static_selectorELNS0_4arch9wavefront6targetE1EEEvSN_,comdat
.Lfunc_end52:
	.size	_ZN7rocprim17ROCPRIM_400000_NS6detail17trampoline_kernelINS0_14default_configENS1_38merge_sort_block_merge_config_selectorIN6thrust23THRUST_200600_302600_NS5tupleIffNS6_9null_typeES8_S8_S8_S8_S8_S8_S8_EENS0_10empty_typeEEEZZNS1_27merge_sort_block_merge_implIS3_NS6_6detail15normal_iteratorINS6_10device_ptrIS9_EEEEPSA_mNS6_4lessIS9_EEEE10hipError_tT0_T1_T2_jT3_P12ihipStream_tbPNSt15iterator_traitsISM_E10value_typeEPNSS_ISN_E10value_typeEPSO_NS1_7vsmem_tEENKUlT_SM_SN_SO_E_clISH_PS9_SI_SI_EESL_S11_SM_SN_SO_EUlS11_E_NS1_11comp_targetILNS1_3genE10ELNS1_11target_archE1201ELNS1_3gpuE5ELNS1_3repE0EEENS1_48merge_mergepath_partition_config_static_selectorELNS0_4arch9wavefront6targetE1EEEvSN_, .Lfunc_end52-_ZN7rocprim17ROCPRIM_400000_NS6detail17trampoline_kernelINS0_14default_configENS1_38merge_sort_block_merge_config_selectorIN6thrust23THRUST_200600_302600_NS5tupleIffNS6_9null_typeES8_S8_S8_S8_S8_S8_S8_EENS0_10empty_typeEEEZZNS1_27merge_sort_block_merge_implIS3_NS6_6detail15normal_iteratorINS6_10device_ptrIS9_EEEEPSA_mNS6_4lessIS9_EEEE10hipError_tT0_T1_T2_jT3_P12ihipStream_tbPNSt15iterator_traitsISM_E10value_typeEPNSS_ISN_E10value_typeEPSO_NS1_7vsmem_tEENKUlT_SM_SN_SO_E_clISH_PS9_SI_SI_EESL_S11_SM_SN_SO_EUlS11_E_NS1_11comp_targetILNS1_3genE10ELNS1_11target_archE1201ELNS1_3gpuE5ELNS1_3repE0EEENS1_48merge_mergepath_partition_config_static_selectorELNS0_4arch9wavefront6targetE1EEEvSN_
                                        ; -- End function
	.section	.AMDGPU.csdata,"",@progbits
; Kernel info:
; codeLenInByte = 0
; NumSgprs: 6
; NumVgprs: 0
; NumAgprs: 0
; TotalNumVgprs: 0
; ScratchSize: 0
; MemoryBound: 0
; FloatMode: 240
; IeeeMode: 1
; LDSByteSize: 0 bytes/workgroup (compile time only)
; SGPRBlocks: 0
; VGPRBlocks: 0
; NumSGPRsForWavesPerEU: 6
; NumVGPRsForWavesPerEU: 1
; AccumOffset: 4
; Occupancy: 8
; WaveLimiterHint : 0
; COMPUTE_PGM_RSRC2:SCRATCH_EN: 0
; COMPUTE_PGM_RSRC2:USER_SGPR: 2
; COMPUTE_PGM_RSRC2:TRAP_HANDLER: 0
; COMPUTE_PGM_RSRC2:TGID_X_EN: 1
; COMPUTE_PGM_RSRC2:TGID_Y_EN: 0
; COMPUTE_PGM_RSRC2:TGID_Z_EN: 0
; COMPUTE_PGM_RSRC2:TIDIG_COMP_CNT: 0
; COMPUTE_PGM_RSRC3_GFX90A:ACCUM_OFFSET: 0
; COMPUTE_PGM_RSRC3_GFX90A:TG_SPLIT: 0
	.section	.text._ZN7rocprim17ROCPRIM_400000_NS6detail17trampoline_kernelINS0_14default_configENS1_38merge_sort_block_merge_config_selectorIN6thrust23THRUST_200600_302600_NS5tupleIffNS6_9null_typeES8_S8_S8_S8_S8_S8_S8_EENS0_10empty_typeEEEZZNS1_27merge_sort_block_merge_implIS3_NS6_6detail15normal_iteratorINS6_10device_ptrIS9_EEEEPSA_mNS6_4lessIS9_EEEE10hipError_tT0_T1_T2_jT3_P12ihipStream_tbPNSt15iterator_traitsISM_E10value_typeEPNSS_ISN_E10value_typeEPSO_NS1_7vsmem_tEENKUlT_SM_SN_SO_E_clISH_PS9_SI_SI_EESL_S11_SM_SN_SO_EUlS11_E_NS1_11comp_targetILNS1_3genE5ELNS1_11target_archE942ELNS1_3gpuE9ELNS1_3repE0EEENS1_48merge_mergepath_partition_config_static_selectorELNS0_4arch9wavefront6targetE1EEEvSN_,"axG",@progbits,_ZN7rocprim17ROCPRIM_400000_NS6detail17trampoline_kernelINS0_14default_configENS1_38merge_sort_block_merge_config_selectorIN6thrust23THRUST_200600_302600_NS5tupleIffNS6_9null_typeES8_S8_S8_S8_S8_S8_S8_EENS0_10empty_typeEEEZZNS1_27merge_sort_block_merge_implIS3_NS6_6detail15normal_iteratorINS6_10device_ptrIS9_EEEEPSA_mNS6_4lessIS9_EEEE10hipError_tT0_T1_T2_jT3_P12ihipStream_tbPNSt15iterator_traitsISM_E10value_typeEPNSS_ISN_E10value_typeEPSO_NS1_7vsmem_tEENKUlT_SM_SN_SO_E_clISH_PS9_SI_SI_EESL_S11_SM_SN_SO_EUlS11_E_NS1_11comp_targetILNS1_3genE5ELNS1_11target_archE942ELNS1_3gpuE9ELNS1_3repE0EEENS1_48merge_mergepath_partition_config_static_selectorELNS0_4arch9wavefront6targetE1EEEvSN_,comdat
	.protected	_ZN7rocprim17ROCPRIM_400000_NS6detail17trampoline_kernelINS0_14default_configENS1_38merge_sort_block_merge_config_selectorIN6thrust23THRUST_200600_302600_NS5tupleIffNS6_9null_typeES8_S8_S8_S8_S8_S8_S8_EENS0_10empty_typeEEEZZNS1_27merge_sort_block_merge_implIS3_NS6_6detail15normal_iteratorINS6_10device_ptrIS9_EEEEPSA_mNS6_4lessIS9_EEEE10hipError_tT0_T1_T2_jT3_P12ihipStream_tbPNSt15iterator_traitsISM_E10value_typeEPNSS_ISN_E10value_typeEPSO_NS1_7vsmem_tEENKUlT_SM_SN_SO_E_clISH_PS9_SI_SI_EESL_S11_SM_SN_SO_EUlS11_E_NS1_11comp_targetILNS1_3genE5ELNS1_11target_archE942ELNS1_3gpuE9ELNS1_3repE0EEENS1_48merge_mergepath_partition_config_static_selectorELNS0_4arch9wavefront6targetE1EEEvSN_ ; -- Begin function _ZN7rocprim17ROCPRIM_400000_NS6detail17trampoline_kernelINS0_14default_configENS1_38merge_sort_block_merge_config_selectorIN6thrust23THRUST_200600_302600_NS5tupleIffNS6_9null_typeES8_S8_S8_S8_S8_S8_S8_EENS0_10empty_typeEEEZZNS1_27merge_sort_block_merge_implIS3_NS6_6detail15normal_iteratorINS6_10device_ptrIS9_EEEEPSA_mNS6_4lessIS9_EEEE10hipError_tT0_T1_T2_jT3_P12ihipStream_tbPNSt15iterator_traitsISM_E10value_typeEPNSS_ISN_E10value_typeEPSO_NS1_7vsmem_tEENKUlT_SM_SN_SO_E_clISH_PS9_SI_SI_EESL_S11_SM_SN_SO_EUlS11_E_NS1_11comp_targetILNS1_3genE5ELNS1_11target_archE942ELNS1_3gpuE9ELNS1_3repE0EEENS1_48merge_mergepath_partition_config_static_selectorELNS0_4arch9wavefront6targetE1EEEvSN_
	.globl	_ZN7rocprim17ROCPRIM_400000_NS6detail17trampoline_kernelINS0_14default_configENS1_38merge_sort_block_merge_config_selectorIN6thrust23THRUST_200600_302600_NS5tupleIffNS6_9null_typeES8_S8_S8_S8_S8_S8_S8_EENS0_10empty_typeEEEZZNS1_27merge_sort_block_merge_implIS3_NS6_6detail15normal_iteratorINS6_10device_ptrIS9_EEEEPSA_mNS6_4lessIS9_EEEE10hipError_tT0_T1_T2_jT3_P12ihipStream_tbPNSt15iterator_traitsISM_E10value_typeEPNSS_ISN_E10value_typeEPSO_NS1_7vsmem_tEENKUlT_SM_SN_SO_E_clISH_PS9_SI_SI_EESL_S11_SM_SN_SO_EUlS11_E_NS1_11comp_targetILNS1_3genE5ELNS1_11target_archE942ELNS1_3gpuE9ELNS1_3repE0EEENS1_48merge_mergepath_partition_config_static_selectorELNS0_4arch9wavefront6targetE1EEEvSN_
	.p2align	8
	.type	_ZN7rocprim17ROCPRIM_400000_NS6detail17trampoline_kernelINS0_14default_configENS1_38merge_sort_block_merge_config_selectorIN6thrust23THRUST_200600_302600_NS5tupleIffNS6_9null_typeES8_S8_S8_S8_S8_S8_S8_EENS0_10empty_typeEEEZZNS1_27merge_sort_block_merge_implIS3_NS6_6detail15normal_iteratorINS6_10device_ptrIS9_EEEEPSA_mNS6_4lessIS9_EEEE10hipError_tT0_T1_T2_jT3_P12ihipStream_tbPNSt15iterator_traitsISM_E10value_typeEPNSS_ISN_E10value_typeEPSO_NS1_7vsmem_tEENKUlT_SM_SN_SO_E_clISH_PS9_SI_SI_EESL_S11_SM_SN_SO_EUlS11_E_NS1_11comp_targetILNS1_3genE5ELNS1_11target_archE942ELNS1_3gpuE9ELNS1_3repE0EEENS1_48merge_mergepath_partition_config_static_selectorELNS0_4arch9wavefront6targetE1EEEvSN_,@function
_ZN7rocprim17ROCPRIM_400000_NS6detail17trampoline_kernelINS0_14default_configENS1_38merge_sort_block_merge_config_selectorIN6thrust23THRUST_200600_302600_NS5tupleIffNS6_9null_typeES8_S8_S8_S8_S8_S8_S8_EENS0_10empty_typeEEEZZNS1_27merge_sort_block_merge_implIS3_NS6_6detail15normal_iteratorINS6_10device_ptrIS9_EEEEPSA_mNS6_4lessIS9_EEEE10hipError_tT0_T1_T2_jT3_P12ihipStream_tbPNSt15iterator_traitsISM_E10value_typeEPNSS_ISN_E10value_typeEPSO_NS1_7vsmem_tEENKUlT_SM_SN_SO_E_clISH_PS9_SI_SI_EESL_S11_SM_SN_SO_EUlS11_E_NS1_11comp_targetILNS1_3genE5ELNS1_11target_archE942ELNS1_3gpuE9ELNS1_3repE0EEENS1_48merge_mergepath_partition_config_static_selectorELNS0_4arch9wavefront6targetE1EEEvSN_: ; @_ZN7rocprim17ROCPRIM_400000_NS6detail17trampoline_kernelINS0_14default_configENS1_38merge_sort_block_merge_config_selectorIN6thrust23THRUST_200600_302600_NS5tupleIffNS6_9null_typeES8_S8_S8_S8_S8_S8_S8_EENS0_10empty_typeEEEZZNS1_27merge_sort_block_merge_implIS3_NS6_6detail15normal_iteratorINS6_10device_ptrIS9_EEEEPSA_mNS6_4lessIS9_EEEE10hipError_tT0_T1_T2_jT3_P12ihipStream_tbPNSt15iterator_traitsISM_E10value_typeEPNSS_ISN_E10value_typeEPSO_NS1_7vsmem_tEENKUlT_SM_SN_SO_E_clISH_PS9_SI_SI_EESL_S11_SM_SN_SO_EUlS11_E_NS1_11comp_targetILNS1_3genE5ELNS1_11target_archE942ELNS1_3gpuE9ELNS1_3repE0EEENS1_48merge_mergepath_partition_config_static_selectorELNS0_4arch9wavefront6targetE1EEEvSN_
; %bb.0:
	s_load_dword s3, s[0:1], 0x0
	v_lshl_or_b32 v0, s2, 7, v0
	s_waitcnt lgkmcnt(0)
	v_cmp_gt_u32_e32 vcc, s3, v0
	s_and_saveexec_b64 s[2:3], vcc
	s_cbranch_execz .LBB53_10
; %bb.1:
	s_load_dwordx4 s[4:7], s[0:1], 0x8
	s_load_dwordx2 s[2:3], s[0:1], 0x28
	v_mov_b32_e32 v5, 0
	v_mov_b32_e32 v7, v5
	s_waitcnt lgkmcnt(0)
	v_mov_b32_e32 v1, s4
	v_alignbit_b32 v1, s5, v1, 9
	v_and_b32_e32 v1, -2, v1
	v_add_u32_e32 v2, -1, v1
	v_sub_u32_e32 v1, 0, v1
	v_and_b32_e32 v4, v0, v1
	v_lshlrev_b64 v[8:9], 10, v[4:5]
	v_mov_b32_e32 v1, s7
	v_cmp_lt_u64_e32 vcc, s[6:7], v[8:9]
	v_mov_b32_e32 v4, s6
	v_and_b32_e32 v6, v2, v0
	v_cndmask_b32_e32 v3, v9, v1, vcc
	v_cndmask_b32_e32 v2, v8, v4, vcc
	v_lshl_add_u64 v[8:9], v[8:9], 0, s[4:5]
	v_cmp_lt_u64_e32 vcc, s[6:7], v[8:9]
	s_nop 1
	v_cndmask_b32_e32 v11, v9, v1, vcc
	v_cndmask_b32_e32 v10, v8, v4, vcc
	v_lshl_add_u64 v[8:9], v[10:11], 0, s[4:5]
	v_cmp_lt_u64_e32 vcc, s[6:7], v[8:9]
	s_nop 1
	v_cndmask_b32_e32 v14, v8, v4, vcc
	v_cndmask_b32_e32 v1, v9, v1, vcc
	v_sub_co_u32_e32 v8, vcc, v14, v2
	v_lshlrev_b64 v[4:5], 10, v[6:7]
	s_nop 0
	v_subb_co_u32_e32 v9, vcc, v1, v3, vcc
	v_cmp_lt_u64_e32 vcc, v[8:9], v[4:5]
	s_nop 1
	v_cndmask_b32_e32 v13, v5, v9, vcc
	v_cndmask_b32_e32 v12, v4, v8, vcc
	v_sub_co_u32_e32 v6, vcc, v10, v2
	s_nop 1
	v_subb_co_u32_e32 v7, vcc, v11, v3, vcc
	v_sub_co_u32_e32 v4, vcc, v10, v14
	s_nop 1
	v_subb_co_u32_e32 v5, vcc, v11, v1, vcc
	v_lshl_add_u64 v[4:5], v[12:13], 0, v[4:5]
	v_cmp_gt_u64_e32 vcc, v[4:5], v[12:13]
	s_nop 1
	v_cndmask_b32_e64 v5, v5, 0, vcc
	v_cndmask_b32_e64 v4, v4, 0, vcc
	v_cmp_lt_u64_e32 vcc, v[12:13], v[6:7]
	s_nop 1
	v_cndmask_b32_e32 v7, v7, v13, vcc
	v_cndmask_b32_e32 v6, v6, v12, vcc
	v_cmp_lt_u64_e32 vcc, v[4:5], v[6:7]
	s_and_saveexec_b64 s[4:5], vcc
	s_cbranch_execz .LBB53_9
; %bb.2:
	s_load_dwordx2 s[0:1], s[0:1], 0x18
                                        ; implicit-def: $sgpr6_sgpr7
	s_waitcnt lgkmcnt(0)
	v_lshl_add_u64 v[10:11], v[10:11], 3, s[0:1]
	v_lshl_add_u64 v[8:9], v[2:3], 3, s[0:1]
	;; [unrolled: 1-line block ×3, first 2 shown]
	s_mov_b64 s[0:1], 0
	s_branch .LBB53_5
.LBB53_3:                               ;   in Loop: Header=BB53_5 Depth=1
	s_or_b64 exec, exec, s[10:11]
	s_andn2_b64 s[6:7], s[6:7], exec
	s_and_b64 s[10:11], s[12:13], exec
	s_or_b64 s[6:7], s[6:7], s[10:11]
.LBB53_4:                               ;   in Loop: Header=BB53_5 Depth=1
	s_or_b64 exec, exec, s[8:9]
	v_lshl_add_u64 v[14:15], v[12:13], 0, 1
	v_cndmask_b32_e64 v7, v7, v13, s[6:7]
	v_cndmask_b32_e64 v6, v6, v12, s[6:7]
	v_cndmask_b32_e64 v5, v15, v5, s[6:7]
	v_cndmask_b32_e64 v4, v14, v4, s[6:7]
	v_cmp_ge_u64_e32 vcc, v[4:5], v[6:7]
	s_or_b64 s[0:1], vcc, s[0:1]
	s_andn2_b64 exec, exec, s[0:1]
	s_cbranch_execz .LBB53_8
.LBB53_5:                               ; =>This Inner Loop Header: Depth=1
	v_lshl_add_u64 v[12:13], v[6:7], 0, v[4:5]
	v_lshrrev_b64 v[12:13], 1, v[12:13]
	v_not_b32_e32 v17, v13
	v_not_b32_e32 v16, v12
	v_lshl_add_u64 v[14:15], v[12:13], 3, v[8:9]
	v_lshl_add_u64 v[16:17], v[16:17], 3, v[10:11]
	flat_load_dword v1, v[14:15]
	flat_load_dword v18, v[16:17]
	s_or_b64 s[6:7], s[6:7], exec
	s_waitcnt vmcnt(0) lgkmcnt(0)
	v_cmp_nlt_f32_e32 vcc, v18, v1
	s_and_saveexec_b64 s[8:9], vcc
	s_cbranch_execz .LBB53_4
; %bb.6:                                ;   in Loop: Header=BB53_5 Depth=1
	v_cmp_nlt_f32_e32 vcc, v1, v18
	s_mov_b64 s[12:13], 0
	s_and_saveexec_b64 s[10:11], vcc
	s_cbranch_execz .LBB53_3
; %bb.7:                                ;   in Loop: Header=BB53_5 Depth=1
	flat_load_dword v1, v[16:17] offset:4
	flat_load_dword v18, v[14:15] offset:4
	s_waitcnt vmcnt(0) lgkmcnt(0)
	v_cmp_lt_f32_e32 vcc, v1, v18
	s_and_b64 s[12:13], vcc, exec
	s_branch .LBB53_3
.LBB53_8:
	s_or_b64 exec, exec, s[0:1]
.LBB53_9:
	s_or_b64 exec, exec, s[4:5]
	v_mov_b32_e32 v1, 0
	v_lshl_add_u64 v[2:3], v[4:5], 0, v[2:3]
	v_lshl_add_u64 v[0:1], v[0:1], 3, s[2:3]
	global_store_dwordx2 v[0:1], v[2:3], off
.LBB53_10:
	s_endpgm
	.section	.rodata,"a",@progbits
	.p2align	6, 0x0
	.amdhsa_kernel _ZN7rocprim17ROCPRIM_400000_NS6detail17trampoline_kernelINS0_14default_configENS1_38merge_sort_block_merge_config_selectorIN6thrust23THRUST_200600_302600_NS5tupleIffNS6_9null_typeES8_S8_S8_S8_S8_S8_S8_EENS0_10empty_typeEEEZZNS1_27merge_sort_block_merge_implIS3_NS6_6detail15normal_iteratorINS6_10device_ptrIS9_EEEEPSA_mNS6_4lessIS9_EEEE10hipError_tT0_T1_T2_jT3_P12ihipStream_tbPNSt15iterator_traitsISM_E10value_typeEPNSS_ISN_E10value_typeEPSO_NS1_7vsmem_tEENKUlT_SM_SN_SO_E_clISH_PS9_SI_SI_EESL_S11_SM_SN_SO_EUlS11_E_NS1_11comp_targetILNS1_3genE5ELNS1_11target_archE942ELNS1_3gpuE9ELNS1_3repE0EEENS1_48merge_mergepath_partition_config_static_selectorELNS0_4arch9wavefront6targetE1EEEvSN_
		.amdhsa_group_segment_fixed_size 0
		.amdhsa_private_segment_fixed_size 0
		.amdhsa_kernarg_size 48
		.amdhsa_user_sgpr_count 2
		.amdhsa_user_sgpr_dispatch_ptr 0
		.amdhsa_user_sgpr_queue_ptr 0
		.amdhsa_user_sgpr_kernarg_segment_ptr 1
		.amdhsa_user_sgpr_dispatch_id 0
		.amdhsa_user_sgpr_kernarg_preload_length 0
		.amdhsa_user_sgpr_kernarg_preload_offset 0
		.amdhsa_user_sgpr_private_segment_size 0
		.amdhsa_uses_dynamic_stack 0
		.amdhsa_enable_private_segment 0
		.amdhsa_system_sgpr_workgroup_id_x 1
		.amdhsa_system_sgpr_workgroup_id_y 0
		.amdhsa_system_sgpr_workgroup_id_z 0
		.amdhsa_system_sgpr_workgroup_info 0
		.amdhsa_system_vgpr_workitem_id 0
		.amdhsa_next_free_vgpr 19
		.amdhsa_next_free_sgpr 14
		.amdhsa_accum_offset 20
		.amdhsa_reserve_vcc 1
		.amdhsa_float_round_mode_32 0
		.amdhsa_float_round_mode_16_64 0
		.amdhsa_float_denorm_mode_32 3
		.amdhsa_float_denorm_mode_16_64 3
		.amdhsa_dx10_clamp 1
		.amdhsa_ieee_mode 1
		.amdhsa_fp16_overflow 0
		.amdhsa_tg_split 0
		.amdhsa_exception_fp_ieee_invalid_op 0
		.amdhsa_exception_fp_denorm_src 0
		.amdhsa_exception_fp_ieee_div_zero 0
		.amdhsa_exception_fp_ieee_overflow 0
		.amdhsa_exception_fp_ieee_underflow 0
		.amdhsa_exception_fp_ieee_inexact 0
		.amdhsa_exception_int_div_zero 0
	.end_amdhsa_kernel
	.section	.text._ZN7rocprim17ROCPRIM_400000_NS6detail17trampoline_kernelINS0_14default_configENS1_38merge_sort_block_merge_config_selectorIN6thrust23THRUST_200600_302600_NS5tupleIffNS6_9null_typeES8_S8_S8_S8_S8_S8_S8_EENS0_10empty_typeEEEZZNS1_27merge_sort_block_merge_implIS3_NS6_6detail15normal_iteratorINS6_10device_ptrIS9_EEEEPSA_mNS6_4lessIS9_EEEE10hipError_tT0_T1_T2_jT3_P12ihipStream_tbPNSt15iterator_traitsISM_E10value_typeEPNSS_ISN_E10value_typeEPSO_NS1_7vsmem_tEENKUlT_SM_SN_SO_E_clISH_PS9_SI_SI_EESL_S11_SM_SN_SO_EUlS11_E_NS1_11comp_targetILNS1_3genE5ELNS1_11target_archE942ELNS1_3gpuE9ELNS1_3repE0EEENS1_48merge_mergepath_partition_config_static_selectorELNS0_4arch9wavefront6targetE1EEEvSN_,"axG",@progbits,_ZN7rocprim17ROCPRIM_400000_NS6detail17trampoline_kernelINS0_14default_configENS1_38merge_sort_block_merge_config_selectorIN6thrust23THRUST_200600_302600_NS5tupleIffNS6_9null_typeES8_S8_S8_S8_S8_S8_S8_EENS0_10empty_typeEEEZZNS1_27merge_sort_block_merge_implIS3_NS6_6detail15normal_iteratorINS6_10device_ptrIS9_EEEEPSA_mNS6_4lessIS9_EEEE10hipError_tT0_T1_T2_jT3_P12ihipStream_tbPNSt15iterator_traitsISM_E10value_typeEPNSS_ISN_E10value_typeEPSO_NS1_7vsmem_tEENKUlT_SM_SN_SO_E_clISH_PS9_SI_SI_EESL_S11_SM_SN_SO_EUlS11_E_NS1_11comp_targetILNS1_3genE5ELNS1_11target_archE942ELNS1_3gpuE9ELNS1_3repE0EEENS1_48merge_mergepath_partition_config_static_selectorELNS0_4arch9wavefront6targetE1EEEvSN_,comdat
.Lfunc_end53:
	.size	_ZN7rocprim17ROCPRIM_400000_NS6detail17trampoline_kernelINS0_14default_configENS1_38merge_sort_block_merge_config_selectorIN6thrust23THRUST_200600_302600_NS5tupleIffNS6_9null_typeES8_S8_S8_S8_S8_S8_S8_EENS0_10empty_typeEEEZZNS1_27merge_sort_block_merge_implIS3_NS6_6detail15normal_iteratorINS6_10device_ptrIS9_EEEEPSA_mNS6_4lessIS9_EEEE10hipError_tT0_T1_T2_jT3_P12ihipStream_tbPNSt15iterator_traitsISM_E10value_typeEPNSS_ISN_E10value_typeEPSO_NS1_7vsmem_tEENKUlT_SM_SN_SO_E_clISH_PS9_SI_SI_EESL_S11_SM_SN_SO_EUlS11_E_NS1_11comp_targetILNS1_3genE5ELNS1_11target_archE942ELNS1_3gpuE9ELNS1_3repE0EEENS1_48merge_mergepath_partition_config_static_selectorELNS0_4arch9wavefront6targetE1EEEvSN_, .Lfunc_end53-_ZN7rocprim17ROCPRIM_400000_NS6detail17trampoline_kernelINS0_14default_configENS1_38merge_sort_block_merge_config_selectorIN6thrust23THRUST_200600_302600_NS5tupleIffNS6_9null_typeES8_S8_S8_S8_S8_S8_S8_EENS0_10empty_typeEEEZZNS1_27merge_sort_block_merge_implIS3_NS6_6detail15normal_iteratorINS6_10device_ptrIS9_EEEEPSA_mNS6_4lessIS9_EEEE10hipError_tT0_T1_T2_jT3_P12ihipStream_tbPNSt15iterator_traitsISM_E10value_typeEPNSS_ISN_E10value_typeEPSO_NS1_7vsmem_tEENKUlT_SM_SN_SO_E_clISH_PS9_SI_SI_EESL_S11_SM_SN_SO_EUlS11_E_NS1_11comp_targetILNS1_3genE5ELNS1_11target_archE942ELNS1_3gpuE9ELNS1_3repE0EEENS1_48merge_mergepath_partition_config_static_selectorELNS0_4arch9wavefront6targetE1EEEvSN_
                                        ; -- End function
	.section	.AMDGPU.csdata,"",@progbits
; Kernel info:
; codeLenInByte = 572
; NumSgprs: 20
; NumVgprs: 19
; NumAgprs: 0
; TotalNumVgprs: 19
; ScratchSize: 0
; MemoryBound: 0
; FloatMode: 240
; IeeeMode: 1
; LDSByteSize: 0 bytes/workgroup (compile time only)
; SGPRBlocks: 2
; VGPRBlocks: 2
; NumSGPRsForWavesPerEU: 20
; NumVGPRsForWavesPerEU: 19
; AccumOffset: 20
; Occupancy: 8
; WaveLimiterHint : 0
; COMPUTE_PGM_RSRC2:SCRATCH_EN: 0
; COMPUTE_PGM_RSRC2:USER_SGPR: 2
; COMPUTE_PGM_RSRC2:TRAP_HANDLER: 0
; COMPUTE_PGM_RSRC2:TGID_X_EN: 1
; COMPUTE_PGM_RSRC2:TGID_Y_EN: 0
; COMPUTE_PGM_RSRC2:TGID_Z_EN: 0
; COMPUTE_PGM_RSRC2:TIDIG_COMP_CNT: 0
; COMPUTE_PGM_RSRC3_GFX90A:ACCUM_OFFSET: 4
; COMPUTE_PGM_RSRC3_GFX90A:TG_SPLIT: 0
	.section	.text._ZN7rocprim17ROCPRIM_400000_NS6detail17trampoline_kernelINS0_14default_configENS1_38merge_sort_block_merge_config_selectorIN6thrust23THRUST_200600_302600_NS5tupleIffNS6_9null_typeES8_S8_S8_S8_S8_S8_S8_EENS0_10empty_typeEEEZZNS1_27merge_sort_block_merge_implIS3_NS6_6detail15normal_iteratorINS6_10device_ptrIS9_EEEEPSA_mNS6_4lessIS9_EEEE10hipError_tT0_T1_T2_jT3_P12ihipStream_tbPNSt15iterator_traitsISM_E10value_typeEPNSS_ISN_E10value_typeEPSO_NS1_7vsmem_tEENKUlT_SM_SN_SO_E_clISH_PS9_SI_SI_EESL_S11_SM_SN_SO_EUlS11_E_NS1_11comp_targetILNS1_3genE4ELNS1_11target_archE910ELNS1_3gpuE8ELNS1_3repE0EEENS1_48merge_mergepath_partition_config_static_selectorELNS0_4arch9wavefront6targetE1EEEvSN_,"axG",@progbits,_ZN7rocprim17ROCPRIM_400000_NS6detail17trampoline_kernelINS0_14default_configENS1_38merge_sort_block_merge_config_selectorIN6thrust23THRUST_200600_302600_NS5tupleIffNS6_9null_typeES8_S8_S8_S8_S8_S8_S8_EENS0_10empty_typeEEEZZNS1_27merge_sort_block_merge_implIS3_NS6_6detail15normal_iteratorINS6_10device_ptrIS9_EEEEPSA_mNS6_4lessIS9_EEEE10hipError_tT0_T1_T2_jT3_P12ihipStream_tbPNSt15iterator_traitsISM_E10value_typeEPNSS_ISN_E10value_typeEPSO_NS1_7vsmem_tEENKUlT_SM_SN_SO_E_clISH_PS9_SI_SI_EESL_S11_SM_SN_SO_EUlS11_E_NS1_11comp_targetILNS1_3genE4ELNS1_11target_archE910ELNS1_3gpuE8ELNS1_3repE0EEENS1_48merge_mergepath_partition_config_static_selectorELNS0_4arch9wavefront6targetE1EEEvSN_,comdat
	.protected	_ZN7rocprim17ROCPRIM_400000_NS6detail17trampoline_kernelINS0_14default_configENS1_38merge_sort_block_merge_config_selectorIN6thrust23THRUST_200600_302600_NS5tupleIffNS6_9null_typeES8_S8_S8_S8_S8_S8_S8_EENS0_10empty_typeEEEZZNS1_27merge_sort_block_merge_implIS3_NS6_6detail15normal_iteratorINS6_10device_ptrIS9_EEEEPSA_mNS6_4lessIS9_EEEE10hipError_tT0_T1_T2_jT3_P12ihipStream_tbPNSt15iterator_traitsISM_E10value_typeEPNSS_ISN_E10value_typeEPSO_NS1_7vsmem_tEENKUlT_SM_SN_SO_E_clISH_PS9_SI_SI_EESL_S11_SM_SN_SO_EUlS11_E_NS1_11comp_targetILNS1_3genE4ELNS1_11target_archE910ELNS1_3gpuE8ELNS1_3repE0EEENS1_48merge_mergepath_partition_config_static_selectorELNS0_4arch9wavefront6targetE1EEEvSN_ ; -- Begin function _ZN7rocprim17ROCPRIM_400000_NS6detail17trampoline_kernelINS0_14default_configENS1_38merge_sort_block_merge_config_selectorIN6thrust23THRUST_200600_302600_NS5tupleIffNS6_9null_typeES8_S8_S8_S8_S8_S8_S8_EENS0_10empty_typeEEEZZNS1_27merge_sort_block_merge_implIS3_NS6_6detail15normal_iteratorINS6_10device_ptrIS9_EEEEPSA_mNS6_4lessIS9_EEEE10hipError_tT0_T1_T2_jT3_P12ihipStream_tbPNSt15iterator_traitsISM_E10value_typeEPNSS_ISN_E10value_typeEPSO_NS1_7vsmem_tEENKUlT_SM_SN_SO_E_clISH_PS9_SI_SI_EESL_S11_SM_SN_SO_EUlS11_E_NS1_11comp_targetILNS1_3genE4ELNS1_11target_archE910ELNS1_3gpuE8ELNS1_3repE0EEENS1_48merge_mergepath_partition_config_static_selectorELNS0_4arch9wavefront6targetE1EEEvSN_
	.globl	_ZN7rocprim17ROCPRIM_400000_NS6detail17trampoline_kernelINS0_14default_configENS1_38merge_sort_block_merge_config_selectorIN6thrust23THRUST_200600_302600_NS5tupleIffNS6_9null_typeES8_S8_S8_S8_S8_S8_S8_EENS0_10empty_typeEEEZZNS1_27merge_sort_block_merge_implIS3_NS6_6detail15normal_iteratorINS6_10device_ptrIS9_EEEEPSA_mNS6_4lessIS9_EEEE10hipError_tT0_T1_T2_jT3_P12ihipStream_tbPNSt15iterator_traitsISM_E10value_typeEPNSS_ISN_E10value_typeEPSO_NS1_7vsmem_tEENKUlT_SM_SN_SO_E_clISH_PS9_SI_SI_EESL_S11_SM_SN_SO_EUlS11_E_NS1_11comp_targetILNS1_3genE4ELNS1_11target_archE910ELNS1_3gpuE8ELNS1_3repE0EEENS1_48merge_mergepath_partition_config_static_selectorELNS0_4arch9wavefront6targetE1EEEvSN_
	.p2align	8
	.type	_ZN7rocprim17ROCPRIM_400000_NS6detail17trampoline_kernelINS0_14default_configENS1_38merge_sort_block_merge_config_selectorIN6thrust23THRUST_200600_302600_NS5tupleIffNS6_9null_typeES8_S8_S8_S8_S8_S8_S8_EENS0_10empty_typeEEEZZNS1_27merge_sort_block_merge_implIS3_NS6_6detail15normal_iteratorINS6_10device_ptrIS9_EEEEPSA_mNS6_4lessIS9_EEEE10hipError_tT0_T1_T2_jT3_P12ihipStream_tbPNSt15iterator_traitsISM_E10value_typeEPNSS_ISN_E10value_typeEPSO_NS1_7vsmem_tEENKUlT_SM_SN_SO_E_clISH_PS9_SI_SI_EESL_S11_SM_SN_SO_EUlS11_E_NS1_11comp_targetILNS1_3genE4ELNS1_11target_archE910ELNS1_3gpuE8ELNS1_3repE0EEENS1_48merge_mergepath_partition_config_static_selectorELNS0_4arch9wavefront6targetE1EEEvSN_,@function
_ZN7rocprim17ROCPRIM_400000_NS6detail17trampoline_kernelINS0_14default_configENS1_38merge_sort_block_merge_config_selectorIN6thrust23THRUST_200600_302600_NS5tupleIffNS6_9null_typeES8_S8_S8_S8_S8_S8_S8_EENS0_10empty_typeEEEZZNS1_27merge_sort_block_merge_implIS3_NS6_6detail15normal_iteratorINS6_10device_ptrIS9_EEEEPSA_mNS6_4lessIS9_EEEE10hipError_tT0_T1_T2_jT3_P12ihipStream_tbPNSt15iterator_traitsISM_E10value_typeEPNSS_ISN_E10value_typeEPSO_NS1_7vsmem_tEENKUlT_SM_SN_SO_E_clISH_PS9_SI_SI_EESL_S11_SM_SN_SO_EUlS11_E_NS1_11comp_targetILNS1_3genE4ELNS1_11target_archE910ELNS1_3gpuE8ELNS1_3repE0EEENS1_48merge_mergepath_partition_config_static_selectorELNS0_4arch9wavefront6targetE1EEEvSN_: ; @_ZN7rocprim17ROCPRIM_400000_NS6detail17trampoline_kernelINS0_14default_configENS1_38merge_sort_block_merge_config_selectorIN6thrust23THRUST_200600_302600_NS5tupleIffNS6_9null_typeES8_S8_S8_S8_S8_S8_S8_EENS0_10empty_typeEEEZZNS1_27merge_sort_block_merge_implIS3_NS6_6detail15normal_iteratorINS6_10device_ptrIS9_EEEEPSA_mNS6_4lessIS9_EEEE10hipError_tT0_T1_T2_jT3_P12ihipStream_tbPNSt15iterator_traitsISM_E10value_typeEPNSS_ISN_E10value_typeEPSO_NS1_7vsmem_tEENKUlT_SM_SN_SO_E_clISH_PS9_SI_SI_EESL_S11_SM_SN_SO_EUlS11_E_NS1_11comp_targetILNS1_3genE4ELNS1_11target_archE910ELNS1_3gpuE8ELNS1_3repE0EEENS1_48merge_mergepath_partition_config_static_selectorELNS0_4arch9wavefront6targetE1EEEvSN_
; %bb.0:
	.section	.rodata,"a",@progbits
	.p2align	6, 0x0
	.amdhsa_kernel _ZN7rocprim17ROCPRIM_400000_NS6detail17trampoline_kernelINS0_14default_configENS1_38merge_sort_block_merge_config_selectorIN6thrust23THRUST_200600_302600_NS5tupleIffNS6_9null_typeES8_S8_S8_S8_S8_S8_S8_EENS0_10empty_typeEEEZZNS1_27merge_sort_block_merge_implIS3_NS6_6detail15normal_iteratorINS6_10device_ptrIS9_EEEEPSA_mNS6_4lessIS9_EEEE10hipError_tT0_T1_T2_jT3_P12ihipStream_tbPNSt15iterator_traitsISM_E10value_typeEPNSS_ISN_E10value_typeEPSO_NS1_7vsmem_tEENKUlT_SM_SN_SO_E_clISH_PS9_SI_SI_EESL_S11_SM_SN_SO_EUlS11_E_NS1_11comp_targetILNS1_3genE4ELNS1_11target_archE910ELNS1_3gpuE8ELNS1_3repE0EEENS1_48merge_mergepath_partition_config_static_selectorELNS0_4arch9wavefront6targetE1EEEvSN_
		.amdhsa_group_segment_fixed_size 0
		.amdhsa_private_segment_fixed_size 0
		.amdhsa_kernarg_size 48
		.amdhsa_user_sgpr_count 2
		.amdhsa_user_sgpr_dispatch_ptr 0
		.amdhsa_user_sgpr_queue_ptr 0
		.amdhsa_user_sgpr_kernarg_segment_ptr 1
		.amdhsa_user_sgpr_dispatch_id 0
		.amdhsa_user_sgpr_kernarg_preload_length 0
		.amdhsa_user_sgpr_kernarg_preload_offset 0
		.amdhsa_user_sgpr_private_segment_size 0
		.amdhsa_uses_dynamic_stack 0
		.amdhsa_enable_private_segment 0
		.amdhsa_system_sgpr_workgroup_id_x 1
		.amdhsa_system_sgpr_workgroup_id_y 0
		.amdhsa_system_sgpr_workgroup_id_z 0
		.amdhsa_system_sgpr_workgroup_info 0
		.amdhsa_system_vgpr_workitem_id 0
		.amdhsa_next_free_vgpr 1
		.amdhsa_next_free_sgpr 0
		.amdhsa_accum_offset 4
		.amdhsa_reserve_vcc 0
		.amdhsa_float_round_mode_32 0
		.amdhsa_float_round_mode_16_64 0
		.amdhsa_float_denorm_mode_32 3
		.amdhsa_float_denorm_mode_16_64 3
		.amdhsa_dx10_clamp 1
		.amdhsa_ieee_mode 1
		.amdhsa_fp16_overflow 0
		.amdhsa_tg_split 0
		.amdhsa_exception_fp_ieee_invalid_op 0
		.amdhsa_exception_fp_denorm_src 0
		.amdhsa_exception_fp_ieee_div_zero 0
		.amdhsa_exception_fp_ieee_overflow 0
		.amdhsa_exception_fp_ieee_underflow 0
		.amdhsa_exception_fp_ieee_inexact 0
		.amdhsa_exception_int_div_zero 0
	.end_amdhsa_kernel
	.section	.text._ZN7rocprim17ROCPRIM_400000_NS6detail17trampoline_kernelINS0_14default_configENS1_38merge_sort_block_merge_config_selectorIN6thrust23THRUST_200600_302600_NS5tupleIffNS6_9null_typeES8_S8_S8_S8_S8_S8_S8_EENS0_10empty_typeEEEZZNS1_27merge_sort_block_merge_implIS3_NS6_6detail15normal_iteratorINS6_10device_ptrIS9_EEEEPSA_mNS6_4lessIS9_EEEE10hipError_tT0_T1_T2_jT3_P12ihipStream_tbPNSt15iterator_traitsISM_E10value_typeEPNSS_ISN_E10value_typeEPSO_NS1_7vsmem_tEENKUlT_SM_SN_SO_E_clISH_PS9_SI_SI_EESL_S11_SM_SN_SO_EUlS11_E_NS1_11comp_targetILNS1_3genE4ELNS1_11target_archE910ELNS1_3gpuE8ELNS1_3repE0EEENS1_48merge_mergepath_partition_config_static_selectorELNS0_4arch9wavefront6targetE1EEEvSN_,"axG",@progbits,_ZN7rocprim17ROCPRIM_400000_NS6detail17trampoline_kernelINS0_14default_configENS1_38merge_sort_block_merge_config_selectorIN6thrust23THRUST_200600_302600_NS5tupleIffNS6_9null_typeES8_S8_S8_S8_S8_S8_S8_EENS0_10empty_typeEEEZZNS1_27merge_sort_block_merge_implIS3_NS6_6detail15normal_iteratorINS6_10device_ptrIS9_EEEEPSA_mNS6_4lessIS9_EEEE10hipError_tT0_T1_T2_jT3_P12ihipStream_tbPNSt15iterator_traitsISM_E10value_typeEPNSS_ISN_E10value_typeEPSO_NS1_7vsmem_tEENKUlT_SM_SN_SO_E_clISH_PS9_SI_SI_EESL_S11_SM_SN_SO_EUlS11_E_NS1_11comp_targetILNS1_3genE4ELNS1_11target_archE910ELNS1_3gpuE8ELNS1_3repE0EEENS1_48merge_mergepath_partition_config_static_selectorELNS0_4arch9wavefront6targetE1EEEvSN_,comdat
.Lfunc_end54:
	.size	_ZN7rocprim17ROCPRIM_400000_NS6detail17trampoline_kernelINS0_14default_configENS1_38merge_sort_block_merge_config_selectorIN6thrust23THRUST_200600_302600_NS5tupleIffNS6_9null_typeES8_S8_S8_S8_S8_S8_S8_EENS0_10empty_typeEEEZZNS1_27merge_sort_block_merge_implIS3_NS6_6detail15normal_iteratorINS6_10device_ptrIS9_EEEEPSA_mNS6_4lessIS9_EEEE10hipError_tT0_T1_T2_jT3_P12ihipStream_tbPNSt15iterator_traitsISM_E10value_typeEPNSS_ISN_E10value_typeEPSO_NS1_7vsmem_tEENKUlT_SM_SN_SO_E_clISH_PS9_SI_SI_EESL_S11_SM_SN_SO_EUlS11_E_NS1_11comp_targetILNS1_3genE4ELNS1_11target_archE910ELNS1_3gpuE8ELNS1_3repE0EEENS1_48merge_mergepath_partition_config_static_selectorELNS0_4arch9wavefront6targetE1EEEvSN_, .Lfunc_end54-_ZN7rocprim17ROCPRIM_400000_NS6detail17trampoline_kernelINS0_14default_configENS1_38merge_sort_block_merge_config_selectorIN6thrust23THRUST_200600_302600_NS5tupleIffNS6_9null_typeES8_S8_S8_S8_S8_S8_S8_EENS0_10empty_typeEEEZZNS1_27merge_sort_block_merge_implIS3_NS6_6detail15normal_iteratorINS6_10device_ptrIS9_EEEEPSA_mNS6_4lessIS9_EEEE10hipError_tT0_T1_T2_jT3_P12ihipStream_tbPNSt15iterator_traitsISM_E10value_typeEPNSS_ISN_E10value_typeEPSO_NS1_7vsmem_tEENKUlT_SM_SN_SO_E_clISH_PS9_SI_SI_EESL_S11_SM_SN_SO_EUlS11_E_NS1_11comp_targetILNS1_3genE4ELNS1_11target_archE910ELNS1_3gpuE8ELNS1_3repE0EEENS1_48merge_mergepath_partition_config_static_selectorELNS0_4arch9wavefront6targetE1EEEvSN_
                                        ; -- End function
	.section	.AMDGPU.csdata,"",@progbits
; Kernel info:
; codeLenInByte = 0
; NumSgprs: 6
; NumVgprs: 0
; NumAgprs: 0
; TotalNumVgprs: 0
; ScratchSize: 0
; MemoryBound: 0
; FloatMode: 240
; IeeeMode: 1
; LDSByteSize: 0 bytes/workgroup (compile time only)
; SGPRBlocks: 0
; VGPRBlocks: 0
; NumSGPRsForWavesPerEU: 6
; NumVGPRsForWavesPerEU: 1
; AccumOffset: 4
; Occupancy: 8
; WaveLimiterHint : 0
; COMPUTE_PGM_RSRC2:SCRATCH_EN: 0
; COMPUTE_PGM_RSRC2:USER_SGPR: 2
; COMPUTE_PGM_RSRC2:TRAP_HANDLER: 0
; COMPUTE_PGM_RSRC2:TGID_X_EN: 1
; COMPUTE_PGM_RSRC2:TGID_Y_EN: 0
; COMPUTE_PGM_RSRC2:TGID_Z_EN: 0
; COMPUTE_PGM_RSRC2:TIDIG_COMP_CNT: 0
; COMPUTE_PGM_RSRC3_GFX90A:ACCUM_OFFSET: 0
; COMPUTE_PGM_RSRC3_GFX90A:TG_SPLIT: 0
	.section	.text._ZN7rocprim17ROCPRIM_400000_NS6detail17trampoline_kernelINS0_14default_configENS1_38merge_sort_block_merge_config_selectorIN6thrust23THRUST_200600_302600_NS5tupleIffNS6_9null_typeES8_S8_S8_S8_S8_S8_S8_EENS0_10empty_typeEEEZZNS1_27merge_sort_block_merge_implIS3_NS6_6detail15normal_iteratorINS6_10device_ptrIS9_EEEEPSA_mNS6_4lessIS9_EEEE10hipError_tT0_T1_T2_jT3_P12ihipStream_tbPNSt15iterator_traitsISM_E10value_typeEPNSS_ISN_E10value_typeEPSO_NS1_7vsmem_tEENKUlT_SM_SN_SO_E_clISH_PS9_SI_SI_EESL_S11_SM_SN_SO_EUlS11_E_NS1_11comp_targetILNS1_3genE3ELNS1_11target_archE908ELNS1_3gpuE7ELNS1_3repE0EEENS1_48merge_mergepath_partition_config_static_selectorELNS0_4arch9wavefront6targetE1EEEvSN_,"axG",@progbits,_ZN7rocprim17ROCPRIM_400000_NS6detail17trampoline_kernelINS0_14default_configENS1_38merge_sort_block_merge_config_selectorIN6thrust23THRUST_200600_302600_NS5tupleIffNS6_9null_typeES8_S8_S8_S8_S8_S8_S8_EENS0_10empty_typeEEEZZNS1_27merge_sort_block_merge_implIS3_NS6_6detail15normal_iteratorINS6_10device_ptrIS9_EEEEPSA_mNS6_4lessIS9_EEEE10hipError_tT0_T1_T2_jT3_P12ihipStream_tbPNSt15iterator_traitsISM_E10value_typeEPNSS_ISN_E10value_typeEPSO_NS1_7vsmem_tEENKUlT_SM_SN_SO_E_clISH_PS9_SI_SI_EESL_S11_SM_SN_SO_EUlS11_E_NS1_11comp_targetILNS1_3genE3ELNS1_11target_archE908ELNS1_3gpuE7ELNS1_3repE0EEENS1_48merge_mergepath_partition_config_static_selectorELNS0_4arch9wavefront6targetE1EEEvSN_,comdat
	.protected	_ZN7rocprim17ROCPRIM_400000_NS6detail17trampoline_kernelINS0_14default_configENS1_38merge_sort_block_merge_config_selectorIN6thrust23THRUST_200600_302600_NS5tupleIffNS6_9null_typeES8_S8_S8_S8_S8_S8_S8_EENS0_10empty_typeEEEZZNS1_27merge_sort_block_merge_implIS3_NS6_6detail15normal_iteratorINS6_10device_ptrIS9_EEEEPSA_mNS6_4lessIS9_EEEE10hipError_tT0_T1_T2_jT3_P12ihipStream_tbPNSt15iterator_traitsISM_E10value_typeEPNSS_ISN_E10value_typeEPSO_NS1_7vsmem_tEENKUlT_SM_SN_SO_E_clISH_PS9_SI_SI_EESL_S11_SM_SN_SO_EUlS11_E_NS1_11comp_targetILNS1_3genE3ELNS1_11target_archE908ELNS1_3gpuE7ELNS1_3repE0EEENS1_48merge_mergepath_partition_config_static_selectorELNS0_4arch9wavefront6targetE1EEEvSN_ ; -- Begin function _ZN7rocprim17ROCPRIM_400000_NS6detail17trampoline_kernelINS0_14default_configENS1_38merge_sort_block_merge_config_selectorIN6thrust23THRUST_200600_302600_NS5tupleIffNS6_9null_typeES8_S8_S8_S8_S8_S8_S8_EENS0_10empty_typeEEEZZNS1_27merge_sort_block_merge_implIS3_NS6_6detail15normal_iteratorINS6_10device_ptrIS9_EEEEPSA_mNS6_4lessIS9_EEEE10hipError_tT0_T1_T2_jT3_P12ihipStream_tbPNSt15iterator_traitsISM_E10value_typeEPNSS_ISN_E10value_typeEPSO_NS1_7vsmem_tEENKUlT_SM_SN_SO_E_clISH_PS9_SI_SI_EESL_S11_SM_SN_SO_EUlS11_E_NS1_11comp_targetILNS1_3genE3ELNS1_11target_archE908ELNS1_3gpuE7ELNS1_3repE0EEENS1_48merge_mergepath_partition_config_static_selectorELNS0_4arch9wavefront6targetE1EEEvSN_
	.globl	_ZN7rocprim17ROCPRIM_400000_NS6detail17trampoline_kernelINS0_14default_configENS1_38merge_sort_block_merge_config_selectorIN6thrust23THRUST_200600_302600_NS5tupleIffNS6_9null_typeES8_S8_S8_S8_S8_S8_S8_EENS0_10empty_typeEEEZZNS1_27merge_sort_block_merge_implIS3_NS6_6detail15normal_iteratorINS6_10device_ptrIS9_EEEEPSA_mNS6_4lessIS9_EEEE10hipError_tT0_T1_T2_jT3_P12ihipStream_tbPNSt15iterator_traitsISM_E10value_typeEPNSS_ISN_E10value_typeEPSO_NS1_7vsmem_tEENKUlT_SM_SN_SO_E_clISH_PS9_SI_SI_EESL_S11_SM_SN_SO_EUlS11_E_NS1_11comp_targetILNS1_3genE3ELNS1_11target_archE908ELNS1_3gpuE7ELNS1_3repE0EEENS1_48merge_mergepath_partition_config_static_selectorELNS0_4arch9wavefront6targetE1EEEvSN_
	.p2align	8
	.type	_ZN7rocprim17ROCPRIM_400000_NS6detail17trampoline_kernelINS0_14default_configENS1_38merge_sort_block_merge_config_selectorIN6thrust23THRUST_200600_302600_NS5tupleIffNS6_9null_typeES8_S8_S8_S8_S8_S8_S8_EENS0_10empty_typeEEEZZNS1_27merge_sort_block_merge_implIS3_NS6_6detail15normal_iteratorINS6_10device_ptrIS9_EEEEPSA_mNS6_4lessIS9_EEEE10hipError_tT0_T1_T2_jT3_P12ihipStream_tbPNSt15iterator_traitsISM_E10value_typeEPNSS_ISN_E10value_typeEPSO_NS1_7vsmem_tEENKUlT_SM_SN_SO_E_clISH_PS9_SI_SI_EESL_S11_SM_SN_SO_EUlS11_E_NS1_11comp_targetILNS1_3genE3ELNS1_11target_archE908ELNS1_3gpuE7ELNS1_3repE0EEENS1_48merge_mergepath_partition_config_static_selectorELNS0_4arch9wavefront6targetE1EEEvSN_,@function
_ZN7rocprim17ROCPRIM_400000_NS6detail17trampoline_kernelINS0_14default_configENS1_38merge_sort_block_merge_config_selectorIN6thrust23THRUST_200600_302600_NS5tupleIffNS6_9null_typeES8_S8_S8_S8_S8_S8_S8_EENS0_10empty_typeEEEZZNS1_27merge_sort_block_merge_implIS3_NS6_6detail15normal_iteratorINS6_10device_ptrIS9_EEEEPSA_mNS6_4lessIS9_EEEE10hipError_tT0_T1_T2_jT3_P12ihipStream_tbPNSt15iterator_traitsISM_E10value_typeEPNSS_ISN_E10value_typeEPSO_NS1_7vsmem_tEENKUlT_SM_SN_SO_E_clISH_PS9_SI_SI_EESL_S11_SM_SN_SO_EUlS11_E_NS1_11comp_targetILNS1_3genE3ELNS1_11target_archE908ELNS1_3gpuE7ELNS1_3repE0EEENS1_48merge_mergepath_partition_config_static_selectorELNS0_4arch9wavefront6targetE1EEEvSN_: ; @_ZN7rocprim17ROCPRIM_400000_NS6detail17trampoline_kernelINS0_14default_configENS1_38merge_sort_block_merge_config_selectorIN6thrust23THRUST_200600_302600_NS5tupleIffNS6_9null_typeES8_S8_S8_S8_S8_S8_S8_EENS0_10empty_typeEEEZZNS1_27merge_sort_block_merge_implIS3_NS6_6detail15normal_iteratorINS6_10device_ptrIS9_EEEEPSA_mNS6_4lessIS9_EEEE10hipError_tT0_T1_T2_jT3_P12ihipStream_tbPNSt15iterator_traitsISM_E10value_typeEPNSS_ISN_E10value_typeEPSO_NS1_7vsmem_tEENKUlT_SM_SN_SO_E_clISH_PS9_SI_SI_EESL_S11_SM_SN_SO_EUlS11_E_NS1_11comp_targetILNS1_3genE3ELNS1_11target_archE908ELNS1_3gpuE7ELNS1_3repE0EEENS1_48merge_mergepath_partition_config_static_selectorELNS0_4arch9wavefront6targetE1EEEvSN_
; %bb.0:
	.section	.rodata,"a",@progbits
	.p2align	6, 0x0
	.amdhsa_kernel _ZN7rocprim17ROCPRIM_400000_NS6detail17trampoline_kernelINS0_14default_configENS1_38merge_sort_block_merge_config_selectorIN6thrust23THRUST_200600_302600_NS5tupleIffNS6_9null_typeES8_S8_S8_S8_S8_S8_S8_EENS0_10empty_typeEEEZZNS1_27merge_sort_block_merge_implIS3_NS6_6detail15normal_iteratorINS6_10device_ptrIS9_EEEEPSA_mNS6_4lessIS9_EEEE10hipError_tT0_T1_T2_jT3_P12ihipStream_tbPNSt15iterator_traitsISM_E10value_typeEPNSS_ISN_E10value_typeEPSO_NS1_7vsmem_tEENKUlT_SM_SN_SO_E_clISH_PS9_SI_SI_EESL_S11_SM_SN_SO_EUlS11_E_NS1_11comp_targetILNS1_3genE3ELNS1_11target_archE908ELNS1_3gpuE7ELNS1_3repE0EEENS1_48merge_mergepath_partition_config_static_selectorELNS0_4arch9wavefront6targetE1EEEvSN_
		.amdhsa_group_segment_fixed_size 0
		.amdhsa_private_segment_fixed_size 0
		.amdhsa_kernarg_size 48
		.amdhsa_user_sgpr_count 2
		.amdhsa_user_sgpr_dispatch_ptr 0
		.amdhsa_user_sgpr_queue_ptr 0
		.amdhsa_user_sgpr_kernarg_segment_ptr 1
		.amdhsa_user_sgpr_dispatch_id 0
		.amdhsa_user_sgpr_kernarg_preload_length 0
		.amdhsa_user_sgpr_kernarg_preload_offset 0
		.amdhsa_user_sgpr_private_segment_size 0
		.amdhsa_uses_dynamic_stack 0
		.amdhsa_enable_private_segment 0
		.amdhsa_system_sgpr_workgroup_id_x 1
		.amdhsa_system_sgpr_workgroup_id_y 0
		.amdhsa_system_sgpr_workgroup_id_z 0
		.amdhsa_system_sgpr_workgroup_info 0
		.amdhsa_system_vgpr_workitem_id 0
		.amdhsa_next_free_vgpr 1
		.amdhsa_next_free_sgpr 0
		.amdhsa_accum_offset 4
		.amdhsa_reserve_vcc 0
		.amdhsa_float_round_mode_32 0
		.amdhsa_float_round_mode_16_64 0
		.amdhsa_float_denorm_mode_32 3
		.amdhsa_float_denorm_mode_16_64 3
		.amdhsa_dx10_clamp 1
		.amdhsa_ieee_mode 1
		.amdhsa_fp16_overflow 0
		.amdhsa_tg_split 0
		.amdhsa_exception_fp_ieee_invalid_op 0
		.amdhsa_exception_fp_denorm_src 0
		.amdhsa_exception_fp_ieee_div_zero 0
		.amdhsa_exception_fp_ieee_overflow 0
		.amdhsa_exception_fp_ieee_underflow 0
		.amdhsa_exception_fp_ieee_inexact 0
		.amdhsa_exception_int_div_zero 0
	.end_amdhsa_kernel
	.section	.text._ZN7rocprim17ROCPRIM_400000_NS6detail17trampoline_kernelINS0_14default_configENS1_38merge_sort_block_merge_config_selectorIN6thrust23THRUST_200600_302600_NS5tupleIffNS6_9null_typeES8_S8_S8_S8_S8_S8_S8_EENS0_10empty_typeEEEZZNS1_27merge_sort_block_merge_implIS3_NS6_6detail15normal_iteratorINS6_10device_ptrIS9_EEEEPSA_mNS6_4lessIS9_EEEE10hipError_tT0_T1_T2_jT3_P12ihipStream_tbPNSt15iterator_traitsISM_E10value_typeEPNSS_ISN_E10value_typeEPSO_NS1_7vsmem_tEENKUlT_SM_SN_SO_E_clISH_PS9_SI_SI_EESL_S11_SM_SN_SO_EUlS11_E_NS1_11comp_targetILNS1_3genE3ELNS1_11target_archE908ELNS1_3gpuE7ELNS1_3repE0EEENS1_48merge_mergepath_partition_config_static_selectorELNS0_4arch9wavefront6targetE1EEEvSN_,"axG",@progbits,_ZN7rocprim17ROCPRIM_400000_NS6detail17trampoline_kernelINS0_14default_configENS1_38merge_sort_block_merge_config_selectorIN6thrust23THRUST_200600_302600_NS5tupleIffNS6_9null_typeES8_S8_S8_S8_S8_S8_S8_EENS0_10empty_typeEEEZZNS1_27merge_sort_block_merge_implIS3_NS6_6detail15normal_iteratorINS6_10device_ptrIS9_EEEEPSA_mNS6_4lessIS9_EEEE10hipError_tT0_T1_T2_jT3_P12ihipStream_tbPNSt15iterator_traitsISM_E10value_typeEPNSS_ISN_E10value_typeEPSO_NS1_7vsmem_tEENKUlT_SM_SN_SO_E_clISH_PS9_SI_SI_EESL_S11_SM_SN_SO_EUlS11_E_NS1_11comp_targetILNS1_3genE3ELNS1_11target_archE908ELNS1_3gpuE7ELNS1_3repE0EEENS1_48merge_mergepath_partition_config_static_selectorELNS0_4arch9wavefront6targetE1EEEvSN_,comdat
.Lfunc_end55:
	.size	_ZN7rocprim17ROCPRIM_400000_NS6detail17trampoline_kernelINS0_14default_configENS1_38merge_sort_block_merge_config_selectorIN6thrust23THRUST_200600_302600_NS5tupleIffNS6_9null_typeES8_S8_S8_S8_S8_S8_S8_EENS0_10empty_typeEEEZZNS1_27merge_sort_block_merge_implIS3_NS6_6detail15normal_iteratorINS6_10device_ptrIS9_EEEEPSA_mNS6_4lessIS9_EEEE10hipError_tT0_T1_T2_jT3_P12ihipStream_tbPNSt15iterator_traitsISM_E10value_typeEPNSS_ISN_E10value_typeEPSO_NS1_7vsmem_tEENKUlT_SM_SN_SO_E_clISH_PS9_SI_SI_EESL_S11_SM_SN_SO_EUlS11_E_NS1_11comp_targetILNS1_3genE3ELNS1_11target_archE908ELNS1_3gpuE7ELNS1_3repE0EEENS1_48merge_mergepath_partition_config_static_selectorELNS0_4arch9wavefront6targetE1EEEvSN_, .Lfunc_end55-_ZN7rocprim17ROCPRIM_400000_NS6detail17trampoline_kernelINS0_14default_configENS1_38merge_sort_block_merge_config_selectorIN6thrust23THRUST_200600_302600_NS5tupleIffNS6_9null_typeES8_S8_S8_S8_S8_S8_S8_EENS0_10empty_typeEEEZZNS1_27merge_sort_block_merge_implIS3_NS6_6detail15normal_iteratorINS6_10device_ptrIS9_EEEEPSA_mNS6_4lessIS9_EEEE10hipError_tT0_T1_T2_jT3_P12ihipStream_tbPNSt15iterator_traitsISM_E10value_typeEPNSS_ISN_E10value_typeEPSO_NS1_7vsmem_tEENKUlT_SM_SN_SO_E_clISH_PS9_SI_SI_EESL_S11_SM_SN_SO_EUlS11_E_NS1_11comp_targetILNS1_3genE3ELNS1_11target_archE908ELNS1_3gpuE7ELNS1_3repE0EEENS1_48merge_mergepath_partition_config_static_selectorELNS0_4arch9wavefront6targetE1EEEvSN_
                                        ; -- End function
	.section	.AMDGPU.csdata,"",@progbits
; Kernel info:
; codeLenInByte = 0
; NumSgprs: 6
; NumVgprs: 0
; NumAgprs: 0
; TotalNumVgprs: 0
; ScratchSize: 0
; MemoryBound: 0
; FloatMode: 240
; IeeeMode: 1
; LDSByteSize: 0 bytes/workgroup (compile time only)
; SGPRBlocks: 0
; VGPRBlocks: 0
; NumSGPRsForWavesPerEU: 6
; NumVGPRsForWavesPerEU: 1
; AccumOffset: 4
; Occupancy: 8
; WaveLimiterHint : 0
; COMPUTE_PGM_RSRC2:SCRATCH_EN: 0
; COMPUTE_PGM_RSRC2:USER_SGPR: 2
; COMPUTE_PGM_RSRC2:TRAP_HANDLER: 0
; COMPUTE_PGM_RSRC2:TGID_X_EN: 1
; COMPUTE_PGM_RSRC2:TGID_Y_EN: 0
; COMPUTE_PGM_RSRC2:TGID_Z_EN: 0
; COMPUTE_PGM_RSRC2:TIDIG_COMP_CNT: 0
; COMPUTE_PGM_RSRC3_GFX90A:ACCUM_OFFSET: 0
; COMPUTE_PGM_RSRC3_GFX90A:TG_SPLIT: 0
	.section	.text._ZN7rocprim17ROCPRIM_400000_NS6detail17trampoline_kernelINS0_14default_configENS1_38merge_sort_block_merge_config_selectorIN6thrust23THRUST_200600_302600_NS5tupleIffNS6_9null_typeES8_S8_S8_S8_S8_S8_S8_EENS0_10empty_typeEEEZZNS1_27merge_sort_block_merge_implIS3_NS6_6detail15normal_iteratorINS6_10device_ptrIS9_EEEEPSA_mNS6_4lessIS9_EEEE10hipError_tT0_T1_T2_jT3_P12ihipStream_tbPNSt15iterator_traitsISM_E10value_typeEPNSS_ISN_E10value_typeEPSO_NS1_7vsmem_tEENKUlT_SM_SN_SO_E_clISH_PS9_SI_SI_EESL_S11_SM_SN_SO_EUlS11_E_NS1_11comp_targetILNS1_3genE2ELNS1_11target_archE906ELNS1_3gpuE6ELNS1_3repE0EEENS1_48merge_mergepath_partition_config_static_selectorELNS0_4arch9wavefront6targetE1EEEvSN_,"axG",@progbits,_ZN7rocprim17ROCPRIM_400000_NS6detail17trampoline_kernelINS0_14default_configENS1_38merge_sort_block_merge_config_selectorIN6thrust23THRUST_200600_302600_NS5tupleIffNS6_9null_typeES8_S8_S8_S8_S8_S8_S8_EENS0_10empty_typeEEEZZNS1_27merge_sort_block_merge_implIS3_NS6_6detail15normal_iteratorINS6_10device_ptrIS9_EEEEPSA_mNS6_4lessIS9_EEEE10hipError_tT0_T1_T2_jT3_P12ihipStream_tbPNSt15iterator_traitsISM_E10value_typeEPNSS_ISN_E10value_typeEPSO_NS1_7vsmem_tEENKUlT_SM_SN_SO_E_clISH_PS9_SI_SI_EESL_S11_SM_SN_SO_EUlS11_E_NS1_11comp_targetILNS1_3genE2ELNS1_11target_archE906ELNS1_3gpuE6ELNS1_3repE0EEENS1_48merge_mergepath_partition_config_static_selectorELNS0_4arch9wavefront6targetE1EEEvSN_,comdat
	.protected	_ZN7rocprim17ROCPRIM_400000_NS6detail17trampoline_kernelINS0_14default_configENS1_38merge_sort_block_merge_config_selectorIN6thrust23THRUST_200600_302600_NS5tupleIffNS6_9null_typeES8_S8_S8_S8_S8_S8_S8_EENS0_10empty_typeEEEZZNS1_27merge_sort_block_merge_implIS3_NS6_6detail15normal_iteratorINS6_10device_ptrIS9_EEEEPSA_mNS6_4lessIS9_EEEE10hipError_tT0_T1_T2_jT3_P12ihipStream_tbPNSt15iterator_traitsISM_E10value_typeEPNSS_ISN_E10value_typeEPSO_NS1_7vsmem_tEENKUlT_SM_SN_SO_E_clISH_PS9_SI_SI_EESL_S11_SM_SN_SO_EUlS11_E_NS1_11comp_targetILNS1_3genE2ELNS1_11target_archE906ELNS1_3gpuE6ELNS1_3repE0EEENS1_48merge_mergepath_partition_config_static_selectorELNS0_4arch9wavefront6targetE1EEEvSN_ ; -- Begin function _ZN7rocprim17ROCPRIM_400000_NS6detail17trampoline_kernelINS0_14default_configENS1_38merge_sort_block_merge_config_selectorIN6thrust23THRUST_200600_302600_NS5tupleIffNS6_9null_typeES8_S8_S8_S8_S8_S8_S8_EENS0_10empty_typeEEEZZNS1_27merge_sort_block_merge_implIS3_NS6_6detail15normal_iteratorINS6_10device_ptrIS9_EEEEPSA_mNS6_4lessIS9_EEEE10hipError_tT0_T1_T2_jT3_P12ihipStream_tbPNSt15iterator_traitsISM_E10value_typeEPNSS_ISN_E10value_typeEPSO_NS1_7vsmem_tEENKUlT_SM_SN_SO_E_clISH_PS9_SI_SI_EESL_S11_SM_SN_SO_EUlS11_E_NS1_11comp_targetILNS1_3genE2ELNS1_11target_archE906ELNS1_3gpuE6ELNS1_3repE0EEENS1_48merge_mergepath_partition_config_static_selectorELNS0_4arch9wavefront6targetE1EEEvSN_
	.globl	_ZN7rocprim17ROCPRIM_400000_NS6detail17trampoline_kernelINS0_14default_configENS1_38merge_sort_block_merge_config_selectorIN6thrust23THRUST_200600_302600_NS5tupleIffNS6_9null_typeES8_S8_S8_S8_S8_S8_S8_EENS0_10empty_typeEEEZZNS1_27merge_sort_block_merge_implIS3_NS6_6detail15normal_iteratorINS6_10device_ptrIS9_EEEEPSA_mNS6_4lessIS9_EEEE10hipError_tT0_T1_T2_jT3_P12ihipStream_tbPNSt15iterator_traitsISM_E10value_typeEPNSS_ISN_E10value_typeEPSO_NS1_7vsmem_tEENKUlT_SM_SN_SO_E_clISH_PS9_SI_SI_EESL_S11_SM_SN_SO_EUlS11_E_NS1_11comp_targetILNS1_3genE2ELNS1_11target_archE906ELNS1_3gpuE6ELNS1_3repE0EEENS1_48merge_mergepath_partition_config_static_selectorELNS0_4arch9wavefront6targetE1EEEvSN_
	.p2align	8
	.type	_ZN7rocprim17ROCPRIM_400000_NS6detail17trampoline_kernelINS0_14default_configENS1_38merge_sort_block_merge_config_selectorIN6thrust23THRUST_200600_302600_NS5tupleIffNS6_9null_typeES8_S8_S8_S8_S8_S8_S8_EENS0_10empty_typeEEEZZNS1_27merge_sort_block_merge_implIS3_NS6_6detail15normal_iteratorINS6_10device_ptrIS9_EEEEPSA_mNS6_4lessIS9_EEEE10hipError_tT0_T1_T2_jT3_P12ihipStream_tbPNSt15iterator_traitsISM_E10value_typeEPNSS_ISN_E10value_typeEPSO_NS1_7vsmem_tEENKUlT_SM_SN_SO_E_clISH_PS9_SI_SI_EESL_S11_SM_SN_SO_EUlS11_E_NS1_11comp_targetILNS1_3genE2ELNS1_11target_archE906ELNS1_3gpuE6ELNS1_3repE0EEENS1_48merge_mergepath_partition_config_static_selectorELNS0_4arch9wavefront6targetE1EEEvSN_,@function
_ZN7rocprim17ROCPRIM_400000_NS6detail17trampoline_kernelINS0_14default_configENS1_38merge_sort_block_merge_config_selectorIN6thrust23THRUST_200600_302600_NS5tupleIffNS6_9null_typeES8_S8_S8_S8_S8_S8_S8_EENS0_10empty_typeEEEZZNS1_27merge_sort_block_merge_implIS3_NS6_6detail15normal_iteratorINS6_10device_ptrIS9_EEEEPSA_mNS6_4lessIS9_EEEE10hipError_tT0_T1_T2_jT3_P12ihipStream_tbPNSt15iterator_traitsISM_E10value_typeEPNSS_ISN_E10value_typeEPSO_NS1_7vsmem_tEENKUlT_SM_SN_SO_E_clISH_PS9_SI_SI_EESL_S11_SM_SN_SO_EUlS11_E_NS1_11comp_targetILNS1_3genE2ELNS1_11target_archE906ELNS1_3gpuE6ELNS1_3repE0EEENS1_48merge_mergepath_partition_config_static_selectorELNS0_4arch9wavefront6targetE1EEEvSN_: ; @_ZN7rocprim17ROCPRIM_400000_NS6detail17trampoline_kernelINS0_14default_configENS1_38merge_sort_block_merge_config_selectorIN6thrust23THRUST_200600_302600_NS5tupleIffNS6_9null_typeES8_S8_S8_S8_S8_S8_S8_EENS0_10empty_typeEEEZZNS1_27merge_sort_block_merge_implIS3_NS6_6detail15normal_iteratorINS6_10device_ptrIS9_EEEEPSA_mNS6_4lessIS9_EEEE10hipError_tT0_T1_T2_jT3_P12ihipStream_tbPNSt15iterator_traitsISM_E10value_typeEPNSS_ISN_E10value_typeEPSO_NS1_7vsmem_tEENKUlT_SM_SN_SO_E_clISH_PS9_SI_SI_EESL_S11_SM_SN_SO_EUlS11_E_NS1_11comp_targetILNS1_3genE2ELNS1_11target_archE906ELNS1_3gpuE6ELNS1_3repE0EEENS1_48merge_mergepath_partition_config_static_selectorELNS0_4arch9wavefront6targetE1EEEvSN_
; %bb.0:
	.section	.rodata,"a",@progbits
	.p2align	6, 0x0
	.amdhsa_kernel _ZN7rocprim17ROCPRIM_400000_NS6detail17trampoline_kernelINS0_14default_configENS1_38merge_sort_block_merge_config_selectorIN6thrust23THRUST_200600_302600_NS5tupleIffNS6_9null_typeES8_S8_S8_S8_S8_S8_S8_EENS0_10empty_typeEEEZZNS1_27merge_sort_block_merge_implIS3_NS6_6detail15normal_iteratorINS6_10device_ptrIS9_EEEEPSA_mNS6_4lessIS9_EEEE10hipError_tT0_T1_T2_jT3_P12ihipStream_tbPNSt15iterator_traitsISM_E10value_typeEPNSS_ISN_E10value_typeEPSO_NS1_7vsmem_tEENKUlT_SM_SN_SO_E_clISH_PS9_SI_SI_EESL_S11_SM_SN_SO_EUlS11_E_NS1_11comp_targetILNS1_3genE2ELNS1_11target_archE906ELNS1_3gpuE6ELNS1_3repE0EEENS1_48merge_mergepath_partition_config_static_selectorELNS0_4arch9wavefront6targetE1EEEvSN_
		.amdhsa_group_segment_fixed_size 0
		.amdhsa_private_segment_fixed_size 0
		.amdhsa_kernarg_size 48
		.amdhsa_user_sgpr_count 2
		.amdhsa_user_sgpr_dispatch_ptr 0
		.amdhsa_user_sgpr_queue_ptr 0
		.amdhsa_user_sgpr_kernarg_segment_ptr 1
		.amdhsa_user_sgpr_dispatch_id 0
		.amdhsa_user_sgpr_kernarg_preload_length 0
		.amdhsa_user_sgpr_kernarg_preload_offset 0
		.amdhsa_user_sgpr_private_segment_size 0
		.amdhsa_uses_dynamic_stack 0
		.amdhsa_enable_private_segment 0
		.amdhsa_system_sgpr_workgroup_id_x 1
		.amdhsa_system_sgpr_workgroup_id_y 0
		.amdhsa_system_sgpr_workgroup_id_z 0
		.amdhsa_system_sgpr_workgroup_info 0
		.amdhsa_system_vgpr_workitem_id 0
		.amdhsa_next_free_vgpr 1
		.amdhsa_next_free_sgpr 0
		.amdhsa_accum_offset 4
		.amdhsa_reserve_vcc 0
		.amdhsa_float_round_mode_32 0
		.amdhsa_float_round_mode_16_64 0
		.amdhsa_float_denorm_mode_32 3
		.amdhsa_float_denorm_mode_16_64 3
		.amdhsa_dx10_clamp 1
		.amdhsa_ieee_mode 1
		.amdhsa_fp16_overflow 0
		.amdhsa_tg_split 0
		.amdhsa_exception_fp_ieee_invalid_op 0
		.amdhsa_exception_fp_denorm_src 0
		.amdhsa_exception_fp_ieee_div_zero 0
		.amdhsa_exception_fp_ieee_overflow 0
		.amdhsa_exception_fp_ieee_underflow 0
		.amdhsa_exception_fp_ieee_inexact 0
		.amdhsa_exception_int_div_zero 0
	.end_amdhsa_kernel
	.section	.text._ZN7rocprim17ROCPRIM_400000_NS6detail17trampoline_kernelINS0_14default_configENS1_38merge_sort_block_merge_config_selectorIN6thrust23THRUST_200600_302600_NS5tupleIffNS6_9null_typeES8_S8_S8_S8_S8_S8_S8_EENS0_10empty_typeEEEZZNS1_27merge_sort_block_merge_implIS3_NS6_6detail15normal_iteratorINS6_10device_ptrIS9_EEEEPSA_mNS6_4lessIS9_EEEE10hipError_tT0_T1_T2_jT3_P12ihipStream_tbPNSt15iterator_traitsISM_E10value_typeEPNSS_ISN_E10value_typeEPSO_NS1_7vsmem_tEENKUlT_SM_SN_SO_E_clISH_PS9_SI_SI_EESL_S11_SM_SN_SO_EUlS11_E_NS1_11comp_targetILNS1_3genE2ELNS1_11target_archE906ELNS1_3gpuE6ELNS1_3repE0EEENS1_48merge_mergepath_partition_config_static_selectorELNS0_4arch9wavefront6targetE1EEEvSN_,"axG",@progbits,_ZN7rocprim17ROCPRIM_400000_NS6detail17trampoline_kernelINS0_14default_configENS1_38merge_sort_block_merge_config_selectorIN6thrust23THRUST_200600_302600_NS5tupleIffNS6_9null_typeES8_S8_S8_S8_S8_S8_S8_EENS0_10empty_typeEEEZZNS1_27merge_sort_block_merge_implIS3_NS6_6detail15normal_iteratorINS6_10device_ptrIS9_EEEEPSA_mNS6_4lessIS9_EEEE10hipError_tT0_T1_T2_jT3_P12ihipStream_tbPNSt15iterator_traitsISM_E10value_typeEPNSS_ISN_E10value_typeEPSO_NS1_7vsmem_tEENKUlT_SM_SN_SO_E_clISH_PS9_SI_SI_EESL_S11_SM_SN_SO_EUlS11_E_NS1_11comp_targetILNS1_3genE2ELNS1_11target_archE906ELNS1_3gpuE6ELNS1_3repE0EEENS1_48merge_mergepath_partition_config_static_selectorELNS0_4arch9wavefront6targetE1EEEvSN_,comdat
.Lfunc_end56:
	.size	_ZN7rocprim17ROCPRIM_400000_NS6detail17trampoline_kernelINS0_14default_configENS1_38merge_sort_block_merge_config_selectorIN6thrust23THRUST_200600_302600_NS5tupleIffNS6_9null_typeES8_S8_S8_S8_S8_S8_S8_EENS0_10empty_typeEEEZZNS1_27merge_sort_block_merge_implIS3_NS6_6detail15normal_iteratorINS6_10device_ptrIS9_EEEEPSA_mNS6_4lessIS9_EEEE10hipError_tT0_T1_T2_jT3_P12ihipStream_tbPNSt15iterator_traitsISM_E10value_typeEPNSS_ISN_E10value_typeEPSO_NS1_7vsmem_tEENKUlT_SM_SN_SO_E_clISH_PS9_SI_SI_EESL_S11_SM_SN_SO_EUlS11_E_NS1_11comp_targetILNS1_3genE2ELNS1_11target_archE906ELNS1_3gpuE6ELNS1_3repE0EEENS1_48merge_mergepath_partition_config_static_selectorELNS0_4arch9wavefront6targetE1EEEvSN_, .Lfunc_end56-_ZN7rocprim17ROCPRIM_400000_NS6detail17trampoline_kernelINS0_14default_configENS1_38merge_sort_block_merge_config_selectorIN6thrust23THRUST_200600_302600_NS5tupleIffNS6_9null_typeES8_S8_S8_S8_S8_S8_S8_EENS0_10empty_typeEEEZZNS1_27merge_sort_block_merge_implIS3_NS6_6detail15normal_iteratorINS6_10device_ptrIS9_EEEEPSA_mNS6_4lessIS9_EEEE10hipError_tT0_T1_T2_jT3_P12ihipStream_tbPNSt15iterator_traitsISM_E10value_typeEPNSS_ISN_E10value_typeEPSO_NS1_7vsmem_tEENKUlT_SM_SN_SO_E_clISH_PS9_SI_SI_EESL_S11_SM_SN_SO_EUlS11_E_NS1_11comp_targetILNS1_3genE2ELNS1_11target_archE906ELNS1_3gpuE6ELNS1_3repE0EEENS1_48merge_mergepath_partition_config_static_selectorELNS0_4arch9wavefront6targetE1EEEvSN_
                                        ; -- End function
	.section	.AMDGPU.csdata,"",@progbits
; Kernel info:
; codeLenInByte = 0
; NumSgprs: 6
; NumVgprs: 0
; NumAgprs: 0
; TotalNumVgprs: 0
; ScratchSize: 0
; MemoryBound: 0
; FloatMode: 240
; IeeeMode: 1
; LDSByteSize: 0 bytes/workgroup (compile time only)
; SGPRBlocks: 0
; VGPRBlocks: 0
; NumSGPRsForWavesPerEU: 6
; NumVGPRsForWavesPerEU: 1
; AccumOffset: 4
; Occupancy: 8
; WaveLimiterHint : 0
; COMPUTE_PGM_RSRC2:SCRATCH_EN: 0
; COMPUTE_PGM_RSRC2:USER_SGPR: 2
; COMPUTE_PGM_RSRC2:TRAP_HANDLER: 0
; COMPUTE_PGM_RSRC2:TGID_X_EN: 1
; COMPUTE_PGM_RSRC2:TGID_Y_EN: 0
; COMPUTE_PGM_RSRC2:TGID_Z_EN: 0
; COMPUTE_PGM_RSRC2:TIDIG_COMP_CNT: 0
; COMPUTE_PGM_RSRC3_GFX90A:ACCUM_OFFSET: 0
; COMPUTE_PGM_RSRC3_GFX90A:TG_SPLIT: 0
	.section	.text._ZN7rocprim17ROCPRIM_400000_NS6detail17trampoline_kernelINS0_14default_configENS1_38merge_sort_block_merge_config_selectorIN6thrust23THRUST_200600_302600_NS5tupleIffNS6_9null_typeES8_S8_S8_S8_S8_S8_S8_EENS0_10empty_typeEEEZZNS1_27merge_sort_block_merge_implIS3_NS6_6detail15normal_iteratorINS6_10device_ptrIS9_EEEEPSA_mNS6_4lessIS9_EEEE10hipError_tT0_T1_T2_jT3_P12ihipStream_tbPNSt15iterator_traitsISM_E10value_typeEPNSS_ISN_E10value_typeEPSO_NS1_7vsmem_tEENKUlT_SM_SN_SO_E_clISH_PS9_SI_SI_EESL_S11_SM_SN_SO_EUlS11_E_NS1_11comp_targetILNS1_3genE9ELNS1_11target_archE1100ELNS1_3gpuE3ELNS1_3repE0EEENS1_48merge_mergepath_partition_config_static_selectorELNS0_4arch9wavefront6targetE1EEEvSN_,"axG",@progbits,_ZN7rocprim17ROCPRIM_400000_NS6detail17trampoline_kernelINS0_14default_configENS1_38merge_sort_block_merge_config_selectorIN6thrust23THRUST_200600_302600_NS5tupleIffNS6_9null_typeES8_S8_S8_S8_S8_S8_S8_EENS0_10empty_typeEEEZZNS1_27merge_sort_block_merge_implIS3_NS6_6detail15normal_iteratorINS6_10device_ptrIS9_EEEEPSA_mNS6_4lessIS9_EEEE10hipError_tT0_T1_T2_jT3_P12ihipStream_tbPNSt15iterator_traitsISM_E10value_typeEPNSS_ISN_E10value_typeEPSO_NS1_7vsmem_tEENKUlT_SM_SN_SO_E_clISH_PS9_SI_SI_EESL_S11_SM_SN_SO_EUlS11_E_NS1_11comp_targetILNS1_3genE9ELNS1_11target_archE1100ELNS1_3gpuE3ELNS1_3repE0EEENS1_48merge_mergepath_partition_config_static_selectorELNS0_4arch9wavefront6targetE1EEEvSN_,comdat
	.protected	_ZN7rocprim17ROCPRIM_400000_NS6detail17trampoline_kernelINS0_14default_configENS1_38merge_sort_block_merge_config_selectorIN6thrust23THRUST_200600_302600_NS5tupleIffNS6_9null_typeES8_S8_S8_S8_S8_S8_S8_EENS0_10empty_typeEEEZZNS1_27merge_sort_block_merge_implIS3_NS6_6detail15normal_iteratorINS6_10device_ptrIS9_EEEEPSA_mNS6_4lessIS9_EEEE10hipError_tT0_T1_T2_jT3_P12ihipStream_tbPNSt15iterator_traitsISM_E10value_typeEPNSS_ISN_E10value_typeEPSO_NS1_7vsmem_tEENKUlT_SM_SN_SO_E_clISH_PS9_SI_SI_EESL_S11_SM_SN_SO_EUlS11_E_NS1_11comp_targetILNS1_3genE9ELNS1_11target_archE1100ELNS1_3gpuE3ELNS1_3repE0EEENS1_48merge_mergepath_partition_config_static_selectorELNS0_4arch9wavefront6targetE1EEEvSN_ ; -- Begin function _ZN7rocprim17ROCPRIM_400000_NS6detail17trampoline_kernelINS0_14default_configENS1_38merge_sort_block_merge_config_selectorIN6thrust23THRUST_200600_302600_NS5tupleIffNS6_9null_typeES8_S8_S8_S8_S8_S8_S8_EENS0_10empty_typeEEEZZNS1_27merge_sort_block_merge_implIS3_NS6_6detail15normal_iteratorINS6_10device_ptrIS9_EEEEPSA_mNS6_4lessIS9_EEEE10hipError_tT0_T1_T2_jT3_P12ihipStream_tbPNSt15iterator_traitsISM_E10value_typeEPNSS_ISN_E10value_typeEPSO_NS1_7vsmem_tEENKUlT_SM_SN_SO_E_clISH_PS9_SI_SI_EESL_S11_SM_SN_SO_EUlS11_E_NS1_11comp_targetILNS1_3genE9ELNS1_11target_archE1100ELNS1_3gpuE3ELNS1_3repE0EEENS1_48merge_mergepath_partition_config_static_selectorELNS0_4arch9wavefront6targetE1EEEvSN_
	.globl	_ZN7rocprim17ROCPRIM_400000_NS6detail17trampoline_kernelINS0_14default_configENS1_38merge_sort_block_merge_config_selectorIN6thrust23THRUST_200600_302600_NS5tupleIffNS6_9null_typeES8_S8_S8_S8_S8_S8_S8_EENS0_10empty_typeEEEZZNS1_27merge_sort_block_merge_implIS3_NS6_6detail15normal_iteratorINS6_10device_ptrIS9_EEEEPSA_mNS6_4lessIS9_EEEE10hipError_tT0_T1_T2_jT3_P12ihipStream_tbPNSt15iterator_traitsISM_E10value_typeEPNSS_ISN_E10value_typeEPSO_NS1_7vsmem_tEENKUlT_SM_SN_SO_E_clISH_PS9_SI_SI_EESL_S11_SM_SN_SO_EUlS11_E_NS1_11comp_targetILNS1_3genE9ELNS1_11target_archE1100ELNS1_3gpuE3ELNS1_3repE0EEENS1_48merge_mergepath_partition_config_static_selectorELNS0_4arch9wavefront6targetE1EEEvSN_
	.p2align	8
	.type	_ZN7rocprim17ROCPRIM_400000_NS6detail17trampoline_kernelINS0_14default_configENS1_38merge_sort_block_merge_config_selectorIN6thrust23THRUST_200600_302600_NS5tupleIffNS6_9null_typeES8_S8_S8_S8_S8_S8_S8_EENS0_10empty_typeEEEZZNS1_27merge_sort_block_merge_implIS3_NS6_6detail15normal_iteratorINS6_10device_ptrIS9_EEEEPSA_mNS6_4lessIS9_EEEE10hipError_tT0_T1_T2_jT3_P12ihipStream_tbPNSt15iterator_traitsISM_E10value_typeEPNSS_ISN_E10value_typeEPSO_NS1_7vsmem_tEENKUlT_SM_SN_SO_E_clISH_PS9_SI_SI_EESL_S11_SM_SN_SO_EUlS11_E_NS1_11comp_targetILNS1_3genE9ELNS1_11target_archE1100ELNS1_3gpuE3ELNS1_3repE0EEENS1_48merge_mergepath_partition_config_static_selectorELNS0_4arch9wavefront6targetE1EEEvSN_,@function
_ZN7rocprim17ROCPRIM_400000_NS6detail17trampoline_kernelINS0_14default_configENS1_38merge_sort_block_merge_config_selectorIN6thrust23THRUST_200600_302600_NS5tupleIffNS6_9null_typeES8_S8_S8_S8_S8_S8_S8_EENS0_10empty_typeEEEZZNS1_27merge_sort_block_merge_implIS3_NS6_6detail15normal_iteratorINS6_10device_ptrIS9_EEEEPSA_mNS6_4lessIS9_EEEE10hipError_tT0_T1_T2_jT3_P12ihipStream_tbPNSt15iterator_traitsISM_E10value_typeEPNSS_ISN_E10value_typeEPSO_NS1_7vsmem_tEENKUlT_SM_SN_SO_E_clISH_PS9_SI_SI_EESL_S11_SM_SN_SO_EUlS11_E_NS1_11comp_targetILNS1_3genE9ELNS1_11target_archE1100ELNS1_3gpuE3ELNS1_3repE0EEENS1_48merge_mergepath_partition_config_static_selectorELNS0_4arch9wavefront6targetE1EEEvSN_: ; @_ZN7rocprim17ROCPRIM_400000_NS6detail17trampoline_kernelINS0_14default_configENS1_38merge_sort_block_merge_config_selectorIN6thrust23THRUST_200600_302600_NS5tupleIffNS6_9null_typeES8_S8_S8_S8_S8_S8_S8_EENS0_10empty_typeEEEZZNS1_27merge_sort_block_merge_implIS3_NS6_6detail15normal_iteratorINS6_10device_ptrIS9_EEEEPSA_mNS6_4lessIS9_EEEE10hipError_tT0_T1_T2_jT3_P12ihipStream_tbPNSt15iterator_traitsISM_E10value_typeEPNSS_ISN_E10value_typeEPSO_NS1_7vsmem_tEENKUlT_SM_SN_SO_E_clISH_PS9_SI_SI_EESL_S11_SM_SN_SO_EUlS11_E_NS1_11comp_targetILNS1_3genE9ELNS1_11target_archE1100ELNS1_3gpuE3ELNS1_3repE0EEENS1_48merge_mergepath_partition_config_static_selectorELNS0_4arch9wavefront6targetE1EEEvSN_
; %bb.0:
	.section	.rodata,"a",@progbits
	.p2align	6, 0x0
	.amdhsa_kernel _ZN7rocprim17ROCPRIM_400000_NS6detail17trampoline_kernelINS0_14default_configENS1_38merge_sort_block_merge_config_selectorIN6thrust23THRUST_200600_302600_NS5tupleIffNS6_9null_typeES8_S8_S8_S8_S8_S8_S8_EENS0_10empty_typeEEEZZNS1_27merge_sort_block_merge_implIS3_NS6_6detail15normal_iteratorINS6_10device_ptrIS9_EEEEPSA_mNS6_4lessIS9_EEEE10hipError_tT0_T1_T2_jT3_P12ihipStream_tbPNSt15iterator_traitsISM_E10value_typeEPNSS_ISN_E10value_typeEPSO_NS1_7vsmem_tEENKUlT_SM_SN_SO_E_clISH_PS9_SI_SI_EESL_S11_SM_SN_SO_EUlS11_E_NS1_11comp_targetILNS1_3genE9ELNS1_11target_archE1100ELNS1_3gpuE3ELNS1_3repE0EEENS1_48merge_mergepath_partition_config_static_selectorELNS0_4arch9wavefront6targetE1EEEvSN_
		.amdhsa_group_segment_fixed_size 0
		.amdhsa_private_segment_fixed_size 0
		.amdhsa_kernarg_size 48
		.amdhsa_user_sgpr_count 2
		.amdhsa_user_sgpr_dispatch_ptr 0
		.amdhsa_user_sgpr_queue_ptr 0
		.amdhsa_user_sgpr_kernarg_segment_ptr 1
		.amdhsa_user_sgpr_dispatch_id 0
		.amdhsa_user_sgpr_kernarg_preload_length 0
		.amdhsa_user_sgpr_kernarg_preload_offset 0
		.amdhsa_user_sgpr_private_segment_size 0
		.amdhsa_uses_dynamic_stack 0
		.amdhsa_enable_private_segment 0
		.amdhsa_system_sgpr_workgroup_id_x 1
		.amdhsa_system_sgpr_workgroup_id_y 0
		.amdhsa_system_sgpr_workgroup_id_z 0
		.amdhsa_system_sgpr_workgroup_info 0
		.amdhsa_system_vgpr_workitem_id 0
		.amdhsa_next_free_vgpr 1
		.amdhsa_next_free_sgpr 0
		.amdhsa_accum_offset 4
		.amdhsa_reserve_vcc 0
		.amdhsa_float_round_mode_32 0
		.amdhsa_float_round_mode_16_64 0
		.amdhsa_float_denorm_mode_32 3
		.amdhsa_float_denorm_mode_16_64 3
		.amdhsa_dx10_clamp 1
		.amdhsa_ieee_mode 1
		.amdhsa_fp16_overflow 0
		.amdhsa_tg_split 0
		.amdhsa_exception_fp_ieee_invalid_op 0
		.amdhsa_exception_fp_denorm_src 0
		.amdhsa_exception_fp_ieee_div_zero 0
		.amdhsa_exception_fp_ieee_overflow 0
		.amdhsa_exception_fp_ieee_underflow 0
		.amdhsa_exception_fp_ieee_inexact 0
		.amdhsa_exception_int_div_zero 0
	.end_amdhsa_kernel
	.section	.text._ZN7rocprim17ROCPRIM_400000_NS6detail17trampoline_kernelINS0_14default_configENS1_38merge_sort_block_merge_config_selectorIN6thrust23THRUST_200600_302600_NS5tupleIffNS6_9null_typeES8_S8_S8_S8_S8_S8_S8_EENS0_10empty_typeEEEZZNS1_27merge_sort_block_merge_implIS3_NS6_6detail15normal_iteratorINS6_10device_ptrIS9_EEEEPSA_mNS6_4lessIS9_EEEE10hipError_tT0_T1_T2_jT3_P12ihipStream_tbPNSt15iterator_traitsISM_E10value_typeEPNSS_ISN_E10value_typeEPSO_NS1_7vsmem_tEENKUlT_SM_SN_SO_E_clISH_PS9_SI_SI_EESL_S11_SM_SN_SO_EUlS11_E_NS1_11comp_targetILNS1_3genE9ELNS1_11target_archE1100ELNS1_3gpuE3ELNS1_3repE0EEENS1_48merge_mergepath_partition_config_static_selectorELNS0_4arch9wavefront6targetE1EEEvSN_,"axG",@progbits,_ZN7rocprim17ROCPRIM_400000_NS6detail17trampoline_kernelINS0_14default_configENS1_38merge_sort_block_merge_config_selectorIN6thrust23THRUST_200600_302600_NS5tupleIffNS6_9null_typeES8_S8_S8_S8_S8_S8_S8_EENS0_10empty_typeEEEZZNS1_27merge_sort_block_merge_implIS3_NS6_6detail15normal_iteratorINS6_10device_ptrIS9_EEEEPSA_mNS6_4lessIS9_EEEE10hipError_tT0_T1_T2_jT3_P12ihipStream_tbPNSt15iterator_traitsISM_E10value_typeEPNSS_ISN_E10value_typeEPSO_NS1_7vsmem_tEENKUlT_SM_SN_SO_E_clISH_PS9_SI_SI_EESL_S11_SM_SN_SO_EUlS11_E_NS1_11comp_targetILNS1_3genE9ELNS1_11target_archE1100ELNS1_3gpuE3ELNS1_3repE0EEENS1_48merge_mergepath_partition_config_static_selectorELNS0_4arch9wavefront6targetE1EEEvSN_,comdat
.Lfunc_end57:
	.size	_ZN7rocprim17ROCPRIM_400000_NS6detail17trampoline_kernelINS0_14default_configENS1_38merge_sort_block_merge_config_selectorIN6thrust23THRUST_200600_302600_NS5tupleIffNS6_9null_typeES8_S8_S8_S8_S8_S8_S8_EENS0_10empty_typeEEEZZNS1_27merge_sort_block_merge_implIS3_NS6_6detail15normal_iteratorINS6_10device_ptrIS9_EEEEPSA_mNS6_4lessIS9_EEEE10hipError_tT0_T1_T2_jT3_P12ihipStream_tbPNSt15iterator_traitsISM_E10value_typeEPNSS_ISN_E10value_typeEPSO_NS1_7vsmem_tEENKUlT_SM_SN_SO_E_clISH_PS9_SI_SI_EESL_S11_SM_SN_SO_EUlS11_E_NS1_11comp_targetILNS1_3genE9ELNS1_11target_archE1100ELNS1_3gpuE3ELNS1_3repE0EEENS1_48merge_mergepath_partition_config_static_selectorELNS0_4arch9wavefront6targetE1EEEvSN_, .Lfunc_end57-_ZN7rocprim17ROCPRIM_400000_NS6detail17trampoline_kernelINS0_14default_configENS1_38merge_sort_block_merge_config_selectorIN6thrust23THRUST_200600_302600_NS5tupleIffNS6_9null_typeES8_S8_S8_S8_S8_S8_S8_EENS0_10empty_typeEEEZZNS1_27merge_sort_block_merge_implIS3_NS6_6detail15normal_iteratorINS6_10device_ptrIS9_EEEEPSA_mNS6_4lessIS9_EEEE10hipError_tT0_T1_T2_jT3_P12ihipStream_tbPNSt15iterator_traitsISM_E10value_typeEPNSS_ISN_E10value_typeEPSO_NS1_7vsmem_tEENKUlT_SM_SN_SO_E_clISH_PS9_SI_SI_EESL_S11_SM_SN_SO_EUlS11_E_NS1_11comp_targetILNS1_3genE9ELNS1_11target_archE1100ELNS1_3gpuE3ELNS1_3repE0EEENS1_48merge_mergepath_partition_config_static_selectorELNS0_4arch9wavefront6targetE1EEEvSN_
                                        ; -- End function
	.section	.AMDGPU.csdata,"",@progbits
; Kernel info:
; codeLenInByte = 0
; NumSgprs: 6
; NumVgprs: 0
; NumAgprs: 0
; TotalNumVgprs: 0
; ScratchSize: 0
; MemoryBound: 0
; FloatMode: 240
; IeeeMode: 1
; LDSByteSize: 0 bytes/workgroup (compile time only)
; SGPRBlocks: 0
; VGPRBlocks: 0
; NumSGPRsForWavesPerEU: 6
; NumVGPRsForWavesPerEU: 1
; AccumOffset: 4
; Occupancy: 8
; WaveLimiterHint : 0
; COMPUTE_PGM_RSRC2:SCRATCH_EN: 0
; COMPUTE_PGM_RSRC2:USER_SGPR: 2
; COMPUTE_PGM_RSRC2:TRAP_HANDLER: 0
; COMPUTE_PGM_RSRC2:TGID_X_EN: 1
; COMPUTE_PGM_RSRC2:TGID_Y_EN: 0
; COMPUTE_PGM_RSRC2:TGID_Z_EN: 0
; COMPUTE_PGM_RSRC2:TIDIG_COMP_CNT: 0
; COMPUTE_PGM_RSRC3_GFX90A:ACCUM_OFFSET: 0
; COMPUTE_PGM_RSRC3_GFX90A:TG_SPLIT: 0
	.section	.text._ZN7rocprim17ROCPRIM_400000_NS6detail17trampoline_kernelINS0_14default_configENS1_38merge_sort_block_merge_config_selectorIN6thrust23THRUST_200600_302600_NS5tupleIffNS6_9null_typeES8_S8_S8_S8_S8_S8_S8_EENS0_10empty_typeEEEZZNS1_27merge_sort_block_merge_implIS3_NS6_6detail15normal_iteratorINS6_10device_ptrIS9_EEEEPSA_mNS6_4lessIS9_EEEE10hipError_tT0_T1_T2_jT3_P12ihipStream_tbPNSt15iterator_traitsISM_E10value_typeEPNSS_ISN_E10value_typeEPSO_NS1_7vsmem_tEENKUlT_SM_SN_SO_E_clISH_PS9_SI_SI_EESL_S11_SM_SN_SO_EUlS11_E_NS1_11comp_targetILNS1_3genE8ELNS1_11target_archE1030ELNS1_3gpuE2ELNS1_3repE0EEENS1_48merge_mergepath_partition_config_static_selectorELNS0_4arch9wavefront6targetE1EEEvSN_,"axG",@progbits,_ZN7rocprim17ROCPRIM_400000_NS6detail17trampoline_kernelINS0_14default_configENS1_38merge_sort_block_merge_config_selectorIN6thrust23THRUST_200600_302600_NS5tupleIffNS6_9null_typeES8_S8_S8_S8_S8_S8_S8_EENS0_10empty_typeEEEZZNS1_27merge_sort_block_merge_implIS3_NS6_6detail15normal_iteratorINS6_10device_ptrIS9_EEEEPSA_mNS6_4lessIS9_EEEE10hipError_tT0_T1_T2_jT3_P12ihipStream_tbPNSt15iterator_traitsISM_E10value_typeEPNSS_ISN_E10value_typeEPSO_NS1_7vsmem_tEENKUlT_SM_SN_SO_E_clISH_PS9_SI_SI_EESL_S11_SM_SN_SO_EUlS11_E_NS1_11comp_targetILNS1_3genE8ELNS1_11target_archE1030ELNS1_3gpuE2ELNS1_3repE0EEENS1_48merge_mergepath_partition_config_static_selectorELNS0_4arch9wavefront6targetE1EEEvSN_,comdat
	.protected	_ZN7rocprim17ROCPRIM_400000_NS6detail17trampoline_kernelINS0_14default_configENS1_38merge_sort_block_merge_config_selectorIN6thrust23THRUST_200600_302600_NS5tupleIffNS6_9null_typeES8_S8_S8_S8_S8_S8_S8_EENS0_10empty_typeEEEZZNS1_27merge_sort_block_merge_implIS3_NS6_6detail15normal_iteratorINS6_10device_ptrIS9_EEEEPSA_mNS6_4lessIS9_EEEE10hipError_tT0_T1_T2_jT3_P12ihipStream_tbPNSt15iterator_traitsISM_E10value_typeEPNSS_ISN_E10value_typeEPSO_NS1_7vsmem_tEENKUlT_SM_SN_SO_E_clISH_PS9_SI_SI_EESL_S11_SM_SN_SO_EUlS11_E_NS1_11comp_targetILNS1_3genE8ELNS1_11target_archE1030ELNS1_3gpuE2ELNS1_3repE0EEENS1_48merge_mergepath_partition_config_static_selectorELNS0_4arch9wavefront6targetE1EEEvSN_ ; -- Begin function _ZN7rocprim17ROCPRIM_400000_NS6detail17trampoline_kernelINS0_14default_configENS1_38merge_sort_block_merge_config_selectorIN6thrust23THRUST_200600_302600_NS5tupleIffNS6_9null_typeES8_S8_S8_S8_S8_S8_S8_EENS0_10empty_typeEEEZZNS1_27merge_sort_block_merge_implIS3_NS6_6detail15normal_iteratorINS6_10device_ptrIS9_EEEEPSA_mNS6_4lessIS9_EEEE10hipError_tT0_T1_T2_jT3_P12ihipStream_tbPNSt15iterator_traitsISM_E10value_typeEPNSS_ISN_E10value_typeEPSO_NS1_7vsmem_tEENKUlT_SM_SN_SO_E_clISH_PS9_SI_SI_EESL_S11_SM_SN_SO_EUlS11_E_NS1_11comp_targetILNS1_3genE8ELNS1_11target_archE1030ELNS1_3gpuE2ELNS1_3repE0EEENS1_48merge_mergepath_partition_config_static_selectorELNS0_4arch9wavefront6targetE1EEEvSN_
	.globl	_ZN7rocprim17ROCPRIM_400000_NS6detail17trampoline_kernelINS0_14default_configENS1_38merge_sort_block_merge_config_selectorIN6thrust23THRUST_200600_302600_NS5tupleIffNS6_9null_typeES8_S8_S8_S8_S8_S8_S8_EENS0_10empty_typeEEEZZNS1_27merge_sort_block_merge_implIS3_NS6_6detail15normal_iteratorINS6_10device_ptrIS9_EEEEPSA_mNS6_4lessIS9_EEEE10hipError_tT0_T1_T2_jT3_P12ihipStream_tbPNSt15iterator_traitsISM_E10value_typeEPNSS_ISN_E10value_typeEPSO_NS1_7vsmem_tEENKUlT_SM_SN_SO_E_clISH_PS9_SI_SI_EESL_S11_SM_SN_SO_EUlS11_E_NS1_11comp_targetILNS1_3genE8ELNS1_11target_archE1030ELNS1_3gpuE2ELNS1_3repE0EEENS1_48merge_mergepath_partition_config_static_selectorELNS0_4arch9wavefront6targetE1EEEvSN_
	.p2align	8
	.type	_ZN7rocprim17ROCPRIM_400000_NS6detail17trampoline_kernelINS0_14default_configENS1_38merge_sort_block_merge_config_selectorIN6thrust23THRUST_200600_302600_NS5tupleIffNS6_9null_typeES8_S8_S8_S8_S8_S8_S8_EENS0_10empty_typeEEEZZNS1_27merge_sort_block_merge_implIS3_NS6_6detail15normal_iteratorINS6_10device_ptrIS9_EEEEPSA_mNS6_4lessIS9_EEEE10hipError_tT0_T1_T2_jT3_P12ihipStream_tbPNSt15iterator_traitsISM_E10value_typeEPNSS_ISN_E10value_typeEPSO_NS1_7vsmem_tEENKUlT_SM_SN_SO_E_clISH_PS9_SI_SI_EESL_S11_SM_SN_SO_EUlS11_E_NS1_11comp_targetILNS1_3genE8ELNS1_11target_archE1030ELNS1_3gpuE2ELNS1_3repE0EEENS1_48merge_mergepath_partition_config_static_selectorELNS0_4arch9wavefront6targetE1EEEvSN_,@function
_ZN7rocprim17ROCPRIM_400000_NS6detail17trampoline_kernelINS0_14default_configENS1_38merge_sort_block_merge_config_selectorIN6thrust23THRUST_200600_302600_NS5tupleIffNS6_9null_typeES8_S8_S8_S8_S8_S8_S8_EENS0_10empty_typeEEEZZNS1_27merge_sort_block_merge_implIS3_NS6_6detail15normal_iteratorINS6_10device_ptrIS9_EEEEPSA_mNS6_4lessIS9_EEEE10hipError_tT0_T1_T2_jT3_P12ihipStream_tbPNSt15iterator_traitsISM_E10value_typeEPNSS_ISN_E10value_typeEPSO_NS1_7vsmem_tEENKUlT_SM_SN_SO_E_clISH_PS9_SI_SI_EESL_S11_SM_SN_SO_EUlS11_E_NS1_11comp_targetILNS1_3genE8ELNS1_11target_archE1030ELNS1_3gpuE2ELNS1_3repE0EEENS1_48merge_mergepath_partition_config_static_selectorELNS0_4arch9wavefront6targetE1EEEvSN_: ; @_ZN7rocprim17ROCPRIM_400000_NS6detail17trampoline_kernelINS0_14default_configENS1_38merge_sort_block_merge_config_selectorIN6thrust23THRUST_200600_302600_NS5tupleIffNS6_9null_typeES8_S8_S8_S8_S8_S8_S8_EENS0_10empty_typeEEEZZNS1_27merge_sort_block_merge_implIS3_NS6_6detail15normal_iteratorINS6_10device_ptrIS9_EEEEPSA_mNS6_4lessIS9_EEEE10hipError_tT0_T1_T2_jT3_P12ihipStream_tbPNSt15iterator_traitsISM_E10value_typeEPNSS_ISN_E10value_typeEPSO_NS1_7vsmem_tEENKUlT_SM_SN_SO_E_clISH_PS9_SI_SI_EESL_S11_SM_SN_SO_EUlS11_E_NS1_11comp_targetILNS1_3genE8ELNS1_11target_archE1030ELNS1_3gpuE2ELNS1_3repE0EEENS1_48merge_mergepath_partition_config_static_selectorELNS0_4arch9wavefront6targetE1EEEvSN_
; %bb.0:
	.section	.rodata,"a",@progbits
	.p2align	6, 0x0
	.amdhsa_kernel _ZN7rocprim17ROCPRIM_400000_NS6detail17trampoline_kernelINS0_14default_configENS1_38merge_sort_block_merge_config_selectorIN6thrust23THRUST_200600_302600_NS5tupleIffNS6_9null_typeES8_S8_S8_S8_S8_S8_S8_EENS0_10empty_typeEEEZZNS1_27merge_sort_block_merge_implIS3_NS6_6detail15normal_iteratorINS6_10device_ptrIS9_EEEEPSA_mNS6_4lessIS9_EEEE10hipError_tT0_T1_T2_jT3_P12ihipStream_tbPNSt15iterator_traitsISM_E10value_typeEPNSS_ISN_E10value_typeEPSO_NS1_7vsmem_tEENKUlT_SM_SN_SO_E_clISH_PS9_SI_SI_EESL_S11_SM_SN_SO_EUlS11_E_NS1_11comp_targetILNS1_3genE8ELNS1_11target_archE1030ELNS1_3gpuE2ELNS1_3repE0EEENS1_48merge_mergepath_partition_config_static_selectorELNS0_4arch9wavefront6targetE1EEEvSN_
		.amdhsa_group_segment_fixed_size 0
		.amdhsa_private_segment_fixed_size 0
		.amdhsa_kernarg_size 48
		.amdhsa_user_sgpr_count 2
		.amdhsa_user_sgpr_dispatch_ptr 0
		.amdhsa_user_sgpr_queue_ptr 0
		.amdhsa_user_sgpr_kernarg_segment_ptr 1
		.amdhsa_user_sgpr_dispatch_id 0
		.amdhsa_user_sgpr_kernarg_preload_length 0
		.amdhsa_user_sgpr_kernarg_preload_offset 0
		.amdhsa_user_sgpr_private_segment_size 0
		.amdhsa_uses_dynamic_stack 0
		.amdhsa_enable_private_segment 0
		.amdhsa_system_sgpr_workgroup_id_x 1
		.amdhsa_system_sgpr_workgroup_id_y 0
		.amdhsa_system_sgpr_workgroup_id_z 0
		.amdhsa_system_sgpr_workgroup_info 0
		.amdhsa_system_vgpr_workitem_id 0
		.amdhsa_next_free_vgpr 1
		.amdhsa_next_free_sgpr 0
		.amdhsa_accum_offset 4
		.amdhsa_reserve_vcc 0
		.amdhsa_float_round_mode_32 0
		.amdhsa_float_round_mode_16_64 0
		.amdhsa_float_denorm_mode_32 3
		.amdhsa_float_denorm_mode_16_64 3
		.amdhsa_dx10_clamp 1
		.amdhsa_ieee_mode 1
		.amdhsa_fp16_overflow 0
		.amdhsa_tg_split 0
		.amdhsa_exception_fp_ieee_invalid_op 0
		.amdhsa_exception_fp_denorm_src 0
		.amdhsa_exception_fp_ieee_div_zero 0
		.amdhsa_exception_fp_ieee_overflow 0
		.amdhsa_exception_fp_ieee_underflow 0
		.amdhsa_exception_fp_ieee_inexact 0
		.amdhsa_exception_int_div_zero 0
	.end_amdhsa_kernel
	.section	.text._ZN7rocprim17ROCPRIM_400000_NS6detail17trampoline_kernelINS0_14default_configENS1_38merge_sort_block_merge_config_selectorIN6thrust23THRUST_200600_302600_NS5tupleIffNS6_9null_typeES8_S8_S8_S8_S8_S8_S8_EENS0_10empty_typeEEEZZNS1_27merge_sort_block_merge_implIS3_NS6_6detail15normal_iteratorINS6_10device_ptrIS9_EEEEPSA_mNS6_4lessIS9_EEEE10hipError_tT0_T1_T2_jT3_P12ihipStream_tbPNSt15iterator_traitsISM_E10value_typeEPNSS_ISN_E10value_typeEPSO_NS1_7vsmem_tEENKUlT_SM_SN_SO_E_clISH_PS9_SI_SI_EESL_S11_SM_SN_SO_EUlS11_E_NS1_11comp_targetILNS1_3genE8ELNS1_11target_archE1030ELNS1_3gpuE2ELNS1_3repE0EEENS1_48merge_mergepath_partition_config_static_selectorELNS0_4arch9wavefront6targetE1EEEvSN_,"axG",@progbits,_ZN7rocprim17ROCPRIM_400000_NS6detail17trampoline_kernelINS0_14default_configENS1_38merge_sort_block_merge_config_selectorIN6thrust23THRUST_200600_302600_NS5tupleIffNS6_9null_typeES8_S8_S8_S8_S8_S8_S8_EENS0_10empty_typeEEEZZNS1_27merge_sort_block_merge_implIS3_NS6_6detail15normal_iteratorINS6_10device_ptrIS9_EEEEPSA_mNS6_4lessIS9_EEEE10hipError_tT0_T1_T2_jT3_P12ihipStream_tbPNSt15iterator_traitsISM_E10value_typeEPNSS_ISN_E10value_typeEPSO_NS1_7vsmem_tEENKUlT_SM_SN_SO_E_clISH_PS9_SI_SI_EESL_S11_SM_SN_SO_EUlS11_E_NS1_11comp_targetILNS1_3genE8ELNS1_11target_archE1030ELNS1_3gpuE2ELNS1_3repE0EEENS1_48merge_mergepath_partition_config_static_selectorELNS0_4arch9wavefront6targetE1EEEvSN_,comdat
.Lfunc_end58:
	.size	_ZN7rocprim17ROCPRIM_400000_NS6detail17trampoline_kernelINS0_14default_configENS1_38merge_sort_block_merge_config_selectorIN6thrust23THRUST_200600_302600_NS5tupleIffNS6_9null_typeES8_S8_S8_S8_S8_S8_S8_EENS0_10empty_typeEEEZZNS1_27merge_sort_block_merge_implIS3_NS6_6detail15normal_iteratorINS6_10device_ptrIS9_EEEEPSA_mNS6_4lessIS9_EEEE10hipError_tT0_T1_T2_jT3_P12ihipStream_tbPNSt15iterator_traitsISM_E10value_typeEPNSS_ISN_E10value_typeEPSO_NS1_7vsmem_tEENKUlT_SM_SN_SO_E_clISH_PS9_SI_SI_EESL_S11_SM_SN_SO_EUlS11_E_NS1_11comp_targetILNS1_3genE8ELNS1_11target_archE1030ELNS1_3gpuE2ELNS1_3repE0EEENS1_48merge_mergepath_partition_config_static_selectorELNS0_4arch9wavefront6targetE1EEEvSN_, .Lfunc_end58-_ZN7rocprim17ROCPRIM_400000_NS6detail17trampoline_kernelINS0_14default_configENS1_38merge_sort_block_merge_config_selectorIN6thrust23THRUST_200600_302600_NS5tupleIffNS6_9null_typeES8_S8_S8_S8_S8_S8_S8_EENS0_10empty_typeEEEZZNS1_27merge_sort_block_merge_implIS3_NS6_6detail15normal_iteratorINS6_10device_ptrIS9_EEEEPSA_mNS6_4lessIS9_EEEE10hipError_tT0_T1_T2_jT3_P12ihipStream_tbPNSt15iterator_traitsISM_E10value_typeEPNSS_ISN_E10value_typeEPSO_NS1_7vsmem_tEENKUlT_SM_SN_SO_E_clISH_PS9_SI_SI_EESL_S11_SM_SN_SO_EUlS11_E_NS1_11comp_targetILNS1_3genE8ELNS1_11target_archE1030ELNS1_3gpuE2ELNS1_3repE0EEENS1_48merge_mergepath_partition_config_static_selectorELNS0_4arch9wavefront6targetE1EEEvSN_
                                        ; -- End function
	.section	.AMDGPU.csdata,"",@progbits
; Kernel info:
; codeLenInByte = 0
; NumSgprs: 6
; NumVgprs: 0
; NumAgprs: 0
; TotalNumVgprs: 0
; ScratchSize: 0
; MemoryBound: 0
; FloatMode: 240
; IeeeMode: 1
; LDSByteSize: 0 bytes/workgroup (compile time only)
; SGPRBlocks: 0
; VGPRBlocks: 0
; NumSGPRsForWavesPerEU: 6
; NumVGPRsForWavesPerEU: 1
; AccumOffset: 4
; Occupancy: 8
; WaveLimiterHint : 0
; COMPUTE_PGM_RSRC2:SCRATCH_EN: 0
; COMPUTE_PGM_RSRC2:USER_SGPR: 2
; COMPUTE_PGM_RSRC2:TRAP_HANDLER: 0
; COMPUTE_PGM_RSRC2:TGID_X_EN: 1
; COMPUTE_PGM_RSRC2:TGID_Y_EN: 0
; COMPUTE_PGM_RSRC2:TGID_Z_EN: 0
; COMPUTE_PGM_RSRC2:TIDIG_COMP_CNT: 0
; COMPUTE_PGM_RSRC3_GFX90A:ACCUM_OFFSET: 0
; COMPUTE_PGM_RSRC3_GFX90A:TG_SPLIT: 0
	.section	.text._ZN7rocprim17ROCPRIM_400000_NS6detail17trampoline_kernelINS0_14default_configENS1_38merge_sort_block_merge_config_selectorIN6thrust23THRUST_200600_302600_NS5tupleIffNS6_9null_typeES8_S8_S8_S8_S8_S8_S8_EENS0_10empty_typeEEEZZNS1_27merge_sort_block_merge_implIS3_NS6_6detail15normal_iteratorINS6_10device_ptrIS9_EEEEPSA_mNS6_4lessIS9_EEEE10hipError_tT0_T1_T2_jT3_P12ihipStream_tbPNSt15iterator_traitsISM_E10value_typeEPNSS_ISN_E10value_typeEPSO_NS1_7vsmem_tEENKUlT_SM_SN_SO_E_clISH_PS9_SI_SI_EESL_S11_SM_SN_SO_EUlS11_E0_NS1_11comp_targetILNS1_3genE0ELNS1_11target_archE4294967295ELNS1_3gpuE0ELNS1_3repE0EEENS1_38merge_mergepath_config_static_selectorELNS0_4arch9wavefront6targetE1EEEvSN_,"axG",@progbits,_ZN7rocprim17ROCPRIM_400000_NS6detail17trampoline_kernelINS0_14default_configENS1_38merge_sort_block_merge_config_selectorIN6thrust23THRUST_200600_302600_NS5tupleIffNS6_9null_typeES8_S8_S8_S8_S8_S8_S8_EENS0_10empty_typeEEEZZNS1_27merge_sort_block_merge_implIS3_NS6_6detail15normal_iteratorINS6_10device_ptrIS9_EEEEPSA_mNS6_4lessIS9_EEEE10hipError_tT0_T1_T2_jT3_P12ihipStream_tbPNSt15iterator_traitsISM_E10value_typeEPNSS_ISN_E10value_typeEPSO_NS1_7vsmem_tEENKUlT_SM_SN_SO_E_clISH_PS9_SI_SI_EESL_S11_SM_SN_SO_EUlS11_E0_NS1_11comp_targetILNS1_3genE0ELNS1_11target_archE4294967295ELNS1_3gpuE0ELNS1_3repE0EEENS1_38merge_mergepath_config_static_selectorELNS0_4arch9wavefront6targetE1EEEvSN_,comdat
	.protected	_ZN7rocprim17ROCPRIM_400000_NS6detail17trampoline_kernelINS0_14default_configENS1_38merge_sort_block_merge_config_selectorIN6thrust23THRUST_200600_302600_NS5tupleIffNS6_9null_typeES8_S8_S8_S8_S8_S8_S8_EENS0_10empty_typeEEEZZNS1_27merge_sort_block_merge_implIS3_NS6_6detail15normal_iteratorINS6_10device_ptrIS9_EEEEPSA_mNS6_4lessIS9_EEEE10hipError_tT0_T1_T2_jT3_P12ihipStream_tbPNSt15iterator_traitsISM_E10value_typeEPNSS_ISN_E10value_typeEPSO_NS1_7vsmem_tEENKUlT_SM_SN_SO_E_clISH_PS9_SI_SI_EESL_S11_SM_SN_SO_EUlS11_E0_NS1_11comp_targetILNS1_3genE0ELNS1_11target_archE4294967295ELNS1_3gpuE0ELNS1_3repE0EEENS1_38merge_mergepath_config_static_selectorELNS0_4arch9wavefront6targetE1EEEvSN_ ; -- Begin function _ZN7rocprim17ROCPRIM_400000_NS6detail17trampoline_kernelINS0_14default_configENS1_38merge_sort_block_merge_config_selectorIN6thrust23THRUST_200600_302600_NS5tupleIffNS6_9null_typeES8_S8_S8_S8_S8_S8_S8_EENS0_10empty_typeEEEZZNS1_27merge_sort_block_merge_implIS3_NS6_6detail15normal_iteratorINS6_10device_ptrIS9_EEEEPSA_mNS6_4lessIS9_EEEE10hipError_tT0_T1_T2_jT3_P12ihipStream_tbPNSt15iterator_traitsISM_E10value_typeEPNSS_ISN_E10value_typeEPSO_NS1_7vsmem_tEENKUlT_SM_SN_SO_E_clISH_PS9_SI_SI_EESL_S11_SM_SN_SO_EUlS11_E0_NS1_11comp_targetILNS1_3genE0ELNS1_11target_archE4294967295ELNS1_3gpuE0ELNS1_3repE0EEENS1_38merge_mergepath_config_static_selectorELNS0_4arch9wavefront6targetE1EEEvSN_
	.globl	_ZN7rocprim17ROCPRIM_400000_NS6detail17trampoline_kernelINS0_14default_configENS1_38merge_sort_block_merge_config_selectorIN6thrust23THRUST_200600_302600_NS5tupleIffNS6_9null_typeES8_S8_S8_S8_S8_S8_S8_EENS0_10empty_typeEEEZZNS1_27merge_sort_block_merge_implIS3_NS6_6detail15normal_iteratorINS6_10device_ptrIS9_EEEEPSA_mNS6_4lessIS9_EEEE10hipError_tT0_T1_T2_jT3_P12ihipStream_tbPNSt15iterator_traitsISM_E10value_typeEPNSS_ISN_E10value_typeEPSO_NS1_7vsmem_tEENKUlT_SM_SN_SO_E_clISH_PS9_SI_SI_EESL_S11_SM_SN_SO_EUlS11_E0_NS1_11comp_targetILNS1_3genE0ELNS1_11target_archE4294967295ELNS1_3gpuE0ELNS1_3repE0EEENS1_38merge_mergepath_config_static_selectorELNS0_4arch9wavefront6targetE1EEEvSN_
	.p2align	8
	.type	_ZN7rocprim17ROCPRIM_400000_NS6detail17trampoline_kernelINS0_14default_configENS1_38merge_sort_block_merge_config_selectorIN6thrust23THRUST_200600_302600_NS5tupleIffNS6_9null_typeES8_S8_S8_S8_S8_S8_S8_EENS0_10empty_typeEEEZZNS1_27merge_sort_block_merge_implIS3_NS6_6detail15normal_iteratorINS6_10device_ptrIS9_EEEEPSA_mNS6_4lessIS9_EEEE10hipError_tT0_T1_T2_jT3_P12ihipStream_tbPNSt15iterator_traitsISM_E10value_typeEPNSS_ISN_E10value_typeEPSO_NS1_7vsmem_tEENKUlT_SM_SN_SO_E_clISH_PS9_SI_SI_EESL_S11_SM_SN_SO_EUlS11_E0_NS1_11comp_targetILNS1_3genE0ELNS1_11target_archE4294967295ELNS1_3gpuE0ELNS1_3repE0EEENS1_38merge_mergepath_config_static_selectorELNS0_4arch9wavefront6targetE1EEEvSN_,@function
_ZN7rocprim17ROCPRIM_400000_NS6detail17trampoline_kernelINS0_14default_configENS1_38merge_sort_block_merge_config_selectorIN6thrust23THRUST_200600_302600_NS5tupleIffNS6_9null_typeES8_S8_S8_S8_S8_S8_S8_EENS0_10empty_typeEEEZZNS1_27merge_sort_block_merge_implIS3_NS6_6detail15normal_iteratorINS6_10device_ptrIS9_EEEEPSA_mNS6_4lessIS9_EEEE10hipError_tT0_T1_T2_jT3_P12ihipStream_tbPNSt15iterator_traitsISM_E10value_typeEPNSS_ISN_E10value_typeEPSO_NS1_7vsmem_tEENKUlT_SM_SN_SO_E_clISH_PS9_SI_SI_EESL_S11_SM_SN_SO_EUlS11_E0_NS1_11comp_targetILNS1_3genE0ELNS1_11target_archE4294967295ELNS1_3gpuE0ELNS1_3repE0EEENS1_38merge_mergepath_config_static_selectorELNS0_4arch9wavefront6targetE1EEEvSN_: ; @_ZN7rocprim17ROCPRIM_400000_NS6detail17trampoline_kernelINS0_14default_configENS1_38merge_sort_block_merge_config_selectorIN6thrust23THRUST_200600_302600_NS5tupleIffNS6_9null_typeES8_S8_S8_S8_S8_S8_S8_EENS0_10empty_typeEEEZZNS1_27merge_sort_block_merge_implIS3_NS6_6detail15normal_iteratorINS6_10device_ptrIS9_EEEEPSA_mNS6_4lessIS9_EEEE10hipError_tT0_T1_T2_jT3_P12ihipStream_tbPNSt15iterator_traitsISM_E10value_typeEPNSS_ISN_E10value_typeEPSO_NS1_7vsmem_tEENKUlT_SM_SN_SO_E_clISH_PS9_SI_SI_EESL_S11_SM_SN_SO_EUlS11_E0_NS1_11comp_targetILNS1_3genE0ELNS1_11target_archE4294967295ELNS1_3gpuE0ELNS1_3repE0EEENS1_38merge_mergepath_config_static_selectorELNS0_4arch9wavefront6targetE1EEEvSN_
; %bb.0:
	.section	.rodata,"a",@progbits
	.p2align	6, 0x0
	.amdhsa_kernel _ZN7rocprim17ROCPRIM_400000_NS6detail17trampoline_kernelINS0_14default_configENS1_38merge_sort_block_merge_config_selectorIN6thrust23THRUST_200600_302600_NS5tupleIffNS6_9null_typeES8_S8_S8_S8_S8_S8_S8_EENS0_10empty_typeEEEZZNS1_27merge_sort_block_merge_implIS3_NS6_6detail15normal_iteratorINS6_10device_ptrIS9_EEEEPSA_mNS6_4lessIS9_EEEE10hipError_tT0_T1_T2_jT3_P12ihipStream_tbPNSt15iterator_traitsISM_E10value_typeEPNSS_ISN_E10value_typeEPSO_NS1_7vsmem_tEENKUlT_SM_SN_SO_E_clISH_PS9_SI_SI_EESL_S11_SM_SN_SO_EUlS11_E0_NS1_11comp_targetILNS1_3genE0ELNS1_11target_archE4294967295ELNS1_3gpuE0ELNS1_3repE0EEENS1_38merge_mergepath_config_static_selectorELNS0_4arch9wavefront6targetE1EEEvSN_
		.amdhsa_group_segment_fixed_size 0
		.amdhsa_private_segment_fixed_size 0
		.amdhsa_kernarg_size 72
		.amdhsa_user_sgpr_count 2
		.amdhsa_user_sgpr_dispatch_ptr 0
		.amdhsa_user_sgpr_queue_ptr 0
		.amdhsa_user_sgpr_kernarg_segment_ptr 1
		.amdhsa_user_sgpr_dispatch_id 0
		.amdhsa_user_sgpr_kernarg_preload_length 0
		.amdhsa_user_sgpr_kernarg_preload_offset 0
		.amdhsa_user_sgpr_private_segment_size 0
		.amdhsa_uses_dynamic_stack 0
		.amdhsa_enable_private_segment 0
		.amdhsa_system_sgpr_workgroup_id_x 1
		.amdhsa_system_sgpr_workgroup_id_y 0
		.amdhsa_system_sgpr_workgroup_id_z 0
		.amdhsa_system_sgpr_workgroup_info 0
		.amdhsa_system_vgpr_workitem_id 0
		.amdhsa_next_free_vgpr 1
		.amdhsa_next_free_sgpr 0
		.amdhsa_accum_offset 4
		.amdhsa_reserve_vcc 0
		.amdhsa_float_round_mode_32 0
		.amdhsa_float_round_mode_16_64 0
		.amdhsa_float_denorm_mode_32 3
		.amdhsa_float_denorm_mode_16_64 3
		.amdhsa_dx10_clamp 1
		.amdhsa_ieee_mode 1
		.amdhsa_fp16_overflow 0
		.amdhsa_tg_split 0
		.amdhsa_exception_fp_ieee_invalid_op 0
		.amdhsa_exception_fp_denorm_src 0
		.amdhsa_exception_fp_ieee_div_zero 0
		.amdhsa_exception_fp_ieee_overflow 0
		.amdhsa_exception_fp_ieee_underflow 0
		.amdhsa_exception_fp_ieee_inexact 0
		.amdhsa_exception_int_div_zero 0
	.end_amdhsa_kernel
	.section	.text._ZN7rocprim17ROCPRIM_400000_NS6detail17trampoline_kernelINS0_14default_configENS1_38merge_sort_block_merge_config_selectorIN6thrust23THRUST_200600_302600_NS5tupleIffNS6_9null_typeES8_S8_S8_S8_S8_S8_S8_EENS0_10empty_typeEEEZZNS1_27merge_sort_block_merge_implIS3_NS6_6detail15normal_iteratorINS6_10device_ptrIS9_EEEEPSA_mNS6_4lessIS9_EEEE10hipError_tT0_T1_T2_jT3_P12ihipStream_tbPNSt15iterator_traitsISM_E10value_typeEPNSS_ISN_E10value_typeEPSO_NS1_7vsmem_tEENKUlT_SM_SN_SO_E_clISH_PS9_SI_SI_EESL_S11_SM_SN_SO_EUlS11_E0_NS1_11comp_targetILNS1_3genE0ELNS1_11target_archE4294967295ELNS1_3gpuE0ELNS1_3repE0EEENS1_38merge_mergepath_config_static_selectorELNS0_4arch9wavefront6targetE1EEEvSN_,"axG",@progbits,_ZN7rocprim17ROCPRIM_400000_NS6detail17trampoline_kernelINS0_14default_configENS1_38merge_sort_block_merge_config_selectorIN6thrust23THRUST_200600_302600_NS5tupleIffNS6_9null_typeES8_S8_S8_S8_S8_S8_S8_EENS0_10empty_typeEEEZZNS1_27merge_sort_block_merge_implIS3_NS6_6detail15normal_iteratorINS6_10device_ptrIS9_EEEEPSA_mNS6_4lessIS9_EEEE10hipError_tT0_T1_T2_jT3_P12ihipStream_tbPNSt15iterator_traitsISM_E10value_typeEPNSS_ISN_E10value_typeEPSO_NS1_7vsmem_tEENKUlT_SM_SN_SO_E_clISH_PS9_SI_SI_EESL_S11_SM_SN_SO_EUlS11_E0_NS1_11comp_targetILNS1_3genE0ELNS1_11target_archE4294967295ELNS1_3gpuE0ELNS1_3repE0EEENS1_38merge_mergepath_config_static_selectorELNS0_4arch9wavefront6targetE1EEEvSN_,comdat
.Lfunc_end59:
	.size	_ZN7rocprim17ROCPRIM_400000_NS6detail17trampoline_kernelINS0_14default_configENS1_38merge_sort_block_merge_config_selectorIN6thrust23THRUST_200600_302600_NS5tupleIffNS6_9null_typeES8_S8_S8_S8_S8_S8_S8_EENS0_10empty_typeEEEZZNS1_27merge_sort_block_merge_implIS3_NS6_6detail15normal_iteratorINS6_10device_ptrIS9_EEEEPSA_mNS6_4lessIS9_EEEE10hipError_tT0_T1_T2_jT3_P12ihipStream_tbPNSt15iterator_traitsISM_E10value_typeEPNSS_ISN_E10value_typeEPSO_NS1_7vsmem_tEENKUlT_SM_SN_SO_E_clISH_PS9_SI_SI_EESL_S11_SM_SN_SO_EUlS11_E0_NS1_11comp_targetILNS1_3genE0ELNS1_11target_archE4294967295ELNS1_3gpuE0ELNS1_3repE0EEENS1_38merge_mergepath_config_static_selectorELNS0_4arch9wavefront6targetE1EEEvSN_, .Lfunc_end59-_ZN7rocprim17ROCPRIM_400000_NS6detail17trampoline_kernelINS0_14default_configENS1_38merge_sort_block_merge_config_selectorIN6thrust23THRUST_200600_302600_NS5tupleIffNS6_9null_typeES8_S8_S8_S8_S8_S8_S8_EENS0_10empty_typeEEEZZNS1_27merge_sort_block_merge_implIS3_NS6_6detail15normal_iteratorINS6_10device_ptrIS9_EEEEPSA_mNS6_4lessIS9_EEEE10hipError_tT0_T1_T2_jT3_P12ihipStream_tbPNSt15iterator_traitsISM_E10value_typeEPNSS_ISN_E10value_typeEPSO_NS1_7vsmem_tEENKUlT_SM_SN_SO_E_clISH_PS9_SI_SI_EESL_S11_SM_SN_SO_EUlS11_E0_NS1_11comp_targetILNS1_3genE0ELNS1_11target_archE4294967295ELNS1_3gpuE0ELNS1_3repE0EEENS1_38merge_mergepath_config_static_selectorELNS0_4arch9wavefront6targetE1EEEvSN_
                                        ; -- End function
	.section	.AMDGPU.csdata,"",@progbits
; Kernel info:
; codeLenInByte = 0
; NumSgprs: 6
; NumVgprs: 0
; NumAgprs: 0
; TotalNumVgprs: 0
; ScratchSize: 0
; MemoryBound: 0
; FloatMode: 240
; IeeeMode: 1
; LDSByteSize: 0 bytes/workgroup (compile time only)
; SGPRBlocks: 0
; VGPRBlocks: 0
; NumSGPRsForWavesPerEU: 6
; NumVGPRsForWavesPerEU: 1
; AccumOffset: 4
; Occupancy: 8
; WaveLimiterHint : 0
; COMPUTE_PGM_RSRC2:SCRATCH_EN: 0
; COMPUTE_PGM_RSRC2:USER_SGPR: 2
; COMPUTE_PGM_RSRC2:TRAP_HANDLER: 0
; COMPUTE_PGM_RSRC2:TGID_X_EN: 1
; COMPUTE_PGM_RSRC2:TGID_Y_EN: 0
; COMPUTE_PGM_RSRC2:TGID_Z_EN: 0
; COMPUTE_PGM_RSRC2:TIDIG_COMP_CNT: 0
; COMPUTE_PGM_RSRC3_GFX90A:ACCUM_OFFSET: 0
; COMPUTE_PGM_RSRC3_GFX90A:TG_SPLIT: 0
	.section	.text._ZN7rocprim17ROCPRIM_400000_NS6detail17trampoline_kernelINS0_14default_configENS1_38merge_sort_block_merge_config_selectorIN6thrust23THRUST_200600_302600_NS5tupleIffNS6_9null_typeES8_S8_S8_S8_S8_S8_S8_EENS0_10empty_typeEEEZZNS1_27merge_sort_block_merge_implIS3_NS6_6detail15normal_iteratorINS6_10device_ptrIS9_EEEEPSA_mNS6_4lessIS9_EEEE10hipError_tT0_T1_T2_jT3_P12ihipStream_tbPNSt15iterator_traitsISM_E10value_typeEPNSS_ISN_E10value_typeEPSO_NS1_7vsmem_tEENKUlT_SM_SN_SO_E_clISH_PS9_SI_SI_EESL_S11_SM_SN_SO_EUlS11_E0_NS1_11comp_targetILNS1_3genE10ELNS1_11target_archE1201ELNS1_3gpuE5ELNS1_3repE0EEENS1_38merge_mergepath_config_static_selectorELNS0_4arch9wavefront6targetE1EEEvSN_,"axG",@progbits,_ZN7rocprim17ROCPRIM_400000_NS6detail17trampoline_kernelINS0_14default_configENS1_38merge_sort_block_merge_config_selectorIN6thrust23THRUST_200600_302600_NS5tupleIffNS6_9null_typeES8_S8_S8_S8_S8_S8_S8_EENS0_10empty_typeEEEZZNS1_27merge_sort_block_merge_implIS3_NS6_6detail15normal_iteratorINS6_10device_ptrIS9_EEEEPSA_mNS6_4lessIS9_EEEE10hipError_tT0_T1_T2_jT3_P12ihipStream_tbPNSt15iterator_traitsISM_E10value_typeEPNSS_ISN_E10value_typeEPSO_NS1_7vsmem_tEENKUlT_SM_SN_SO_E_clISH_PS9_SI_SI_EESL_S11_SM_SN_SO_EUlS11_E0_NS1_11comp_targetILNS1_3genE10ELNS1_11target_archE1201ELNS1_3gpuE5ELNS1_3repE0EEENS1_38merge_mergepath_config_static_selectorELNS0_4arch9wavefront6targetE1EEEvSN_,comdat
	.protected	_ZN7rocprim17ROCPRIM_400000_NS6detail17trampoline_kernelINS0_14default_configENS1_38merge_sort_block_merge_config_selectorIN6thrust23THRUST_200600_302600_NS5tupleIffNS6_9null_typeES8_S8_S8_S8_S8_S8_S8_EENS0_10empty_typeEEEZZNS1_27merge_sort_block_merge_implIS3_NS6_6detail15normal_iteratorINS6_10device_ptrIS9_EEEEPSA_mNS6_4lessIS9_EEEE10hipError_tT0_T1_T2_jT3_P12ihipStream_tbPNSt15iterator_traitsISM_E10value_typeEPNSS_ISN_E10value_typeEPSO_NS1_7vsmem_tEENKUlT_SM_SN_SO_E_clISH_PS9_SI_SI_EESL_S11_SM_SN_SO_EUlS11_E0_NS1_11comp_targetILNS1_3genE10ELNS1_11target_archE1201ELNS1_3gpuE5ELNS1_3repE0EEENS1_38merge_mergepath_config_static_selectorELNS0_4arch9wavefront6targetE1EEEvSN_ ; -- Begin function _ZN7rocprim17ROCPRIM_400000_NS6detail17trampoline_kernelINS0_14default_configENS1_38merge_sort_block_merge_config_selectorIN6thrust23THRUST_200600_302600_NS5tupleIffNS6_9null_typeES8_S8_S8_S8_S8_S8_S8_EENS0_10empty_typeEEEZZNS1_27merge_sort_block_merge_implIS3_NS6_6detail15normal_iteratorINS6_10device_ptrIS9_EEEEPSA_mNS6_4lessIS9_EEEE10hipError_tT0_T1_T2_jT3_P12ihipStream_tbPNSt15iterator_traitsISM_E10value_typeEPNSS_ISN_E10value_typeEPSO_NS1_7vsmem_tEENKUlT_SM_SN_SO_E_clISH_PS9_SI_SI_EESL_S11_SM_SN_SO_EUlS11_E0_NS1_11comp_targetILNS1_3genE10ELNS1_11target_archE1201ELNS1_3gpuE5ELNS1_3repE0EEENS1_38merge_mergepath_config_static_selectorELNS0_4arch9wavefront6targetE1EEEvSN_
	.globl	_ZN7rocprim17ROCPRIM_400000_NS6detail17trampoline_kernelINS0_14default_configENS1_38merge_sort_block_merge_config_selectorIN6thrust23THRUST_200600_302600_NS5tupleIffNS6_9null_typeES8_S8_S8_S8_S8_S8_S8_EENS0_10empty_typeEEEZZNS1_27merge_sort_block_merge_implIS3_NS6_6detail15normal_iteratorINS6_10device_ptrIS9_EEEEPSA_mNS6_4lessIS9_EEEE10hipError_tT0_T1_T2_jT3_P12ihipStream_tbPNSt15iterator_traitsISM_E10value_typeEPNSS_ISN_E10value_typeEPSO_NS1_7vsmem_tEENKUlT_SM_SN_SO_E_clISH_PS9_SI_SI_EESL_S11_SM_SN_SO_EUlS11_E0_NS1_11comp_targetILNS1_3genE10ELNS1_11target_archE1201ELNS1_3gpuE5ELNS1_3repE0EEENS1_38merge_mergepath_config_static_selectorELNS0_4arch9wavefront6targetE1EEEvSN_
	.p2align	8
	.type	_ZN7rocprim17ROCPRIM_400000_NS6detail17trampoline_kernelINS0_14default_configENS1_38merge_sort_block_merge_config_selectorIN6thrust23THRUST_200600_302600_NS5tupleIffNS6_9null_typeES8_S8_S8_S8_S8_S8_S8_EENS0_10empty_typeEEEZZNS1_27merge_sort_block_merge_implIS3_NS6_6detail15normal_iteratorINS6_10device_ptrIS9_EEEEPSA_mNS6_4lessIS9_EEEE10hipError_tT0_T1_T2_jT3_P12ihipStream_tbPNSt15iterator_traitsISM_E10value_typeEPNSS_ISN_E10value_typeEPSO_NS1_7vsmem_tEENKUlT_SM_SN_SO_E_clISH_PS9_SI_SI_EESL_S11_SM_SN_SO_EUlS11_E0_NS1_11comp_targetILNS1_3genE10ELNS1_11target_archE1201ELNS1_3gpuE5ELNS1_3repE0EEENS1_38merge_mergepath_config_static_selectorELNS0_4arch9wavefront6targetE1EEEvSN_,@function
_ZN7rocprim17ROCPRIM_400000_NS6detail17trampoline_kernelINS0_14default_configENS1_38merge_sort_block_merge_config_selectorIN6thrust23THRUST_200600_302600_NS5tupleIffNS6_9null_typeES8_S8_S8_S8_S8_S8_S8_EENS0_10empty_typeEEEZZNS1_27merge_sort_block_merge_implIS3_NS6_6detail15normal_iteratorINS6_10device_ptrIS9_EEEEPSA_mNS6_4lessIS9_EEEE10hipError_tT0_T1_T2_jT3_P12ihipStream_tbPNSt15iterator_traitsISM_E10value_typeEPNSS_ISN_E10value_typeEPSO_NS1_7vsmem_tEENKUlT_SM_SN_SO_E_clISH_PS9_SI_SI_EESL_S11_SM_SN_SO_EUlS11_E0_NS1_11comp_targetILNS1_3genE10ELNS1_11target_archE1201ELNS1_3gpuE5ELNS1_3repE0EEENS1_38merge_mergepath_config_static_selectorELNS0_4arch9wavefront6targetE1EEEvSN_: ; @_ZN7rocprim17ROCPRIM_400000_NS6detail17trampoline_kernelINS0_14default_configENS1_38merge_sort_block_merge_config_selectorIN6thrust23THRUST_200600_302600_NS5tupleIffNS6_9null_typeES8_S8_S8_S8_S8_S8_S8_EENS0_10empty_typeEEEZZNS1_27merge_sort_block_merge_implIS3_NS6_6detail15normal_iteratorINS6_10device_ptrIS9_EEEEPSA_mNS6_4lessIS9_EEEE10hipError_tT0_T1_T2_jT3_P12ihipStream_tbPNSt15iterator_traitsISM_E10value_typeEPNSS_ISN_E10value_typeEPSO_NS1_7vsmem_tEENKUlT_SM_SN_SO_E_clISH_PS9_SI_SI_EESL_S11_SM_SN_SO_EUlS11_E0_NS1_11comp_targetILNS1_3genE10ELNS1_11target_archE1201ELNS1_3gpuE5ELNS1_3repE0EEENS1_38merge_mergepath_config_static_selectorELNS0_4arch9wavefront6targetE1EEEvSN_
; %bb.0:
	.section	.rodata,"a",@progbits
	.p2align	6, 0x0
	.amdhsa_kernel _ZN7rocprim17ROCPRIM_400000_NS6detail17trampoline_kernelINS0_14default_configENS1_38merge_sort_block_merge_config_selectorIN6thrust23THRUST_200600_302600_NS5tupleIffNS6_9null_typeES8_S8_S8_S8_S8_S8_S8_EENS0_10empty_typeEEEZZNS1_27merge_sort_block_merge_implIS3_NS6_6detail15normal_iteratorINS6_10device_ptrIS9_EEEEPSA_mNS6_4lessIS9_EEEE10hipError_tT0_T1_T2_jT3_P12ihipStream_tbPNSt15iterator_traitsISM_E10value_typeEPNSS_ISN_E10value_typeEPSO_NS1_7vsmem_tEENKUlT_SM_SN_SO_E_clISH_PS9_SI_SI_EESL_S11_SM_SN_SO_EUlS11_E0_NS1_11comp_targetILNS1_3genE10ELNS1_11target_archE1201ELNS1_3gpuE5ELNS1_3repE0EEENS1_38merge_mergepath_config_static_selectorELNS0_4arch9wavefront6targetE1EEEvSN_
		.amdhsa_group_segment_fixed_size 0
		.amdhsa_private_segment_fixed_size 0
		.amdhsa_kernarg_size 72
		.amdhsa_user_sgpr_count 2
		.amdhsa_user_sgpr_dispatch_ptr 0
		.amdhsa_user_sgpr_queue_ptr 0
		.amdhsa_user_sgpr_kernarg_segment_ptr 1
		.amdhsa_user_sgpr_dispatch_id 0
		.amdhsa_user_sgpr_kernarg_preload_length 0
		.amdhsa_user_sgpr_kernarg_preload_offset 0
		.amdhsa_user_sgpr_private_segment_size 0
		.amdhsa_uses_dynamic_stack 0
		.amdhsa_enable_private_segment 0
		.amdhsa_system_sgpr_workgroup_id_x 1
		.amdhsa_system_sgpr_workgroup_id_y 0
		.amdhsa_system_sgpr_workgroup_id_z 0
		.amdhsa_system_sgpr_workgroup_info 0
		.amdhsa_system_vgpr_workitem_id 0
		.amdhsa_next_free_vgpr 1
		.amdhsa_next_free_sgpr 0
		.amdhsa_accum_offset 4
		.amdhsa_reserve_vcc 0
		.amdhsa_float_round_mode_32 0
		.amdhsa_float_round_mode_16_64 0
		.amdhsa_float_denorm_mode_32 3
		.amdhsa_float_denorm_mode_16_64 3
		.amdhsa_dx10_clamp 1
		.amdhsa_ieee_mode 1
		.amdhsa_fp16_overflow 0
		.amdhsa_tg_split 0
		.amdhsa_exception_fp_ieee_invalid_op 0
		.amdhsa_exception_fp_denorm_src 0
		.amdhsa_exception_fp_ieee_div_zero 0
		.amdhsa_exception_fp_ieee_overflow 0
		.amdhsa_exception_fp_ieee_underflow 0
		.amdhsa_exception_fp_ieee_inexact 0
		.amdhsa_exception_int_div_zero 0
	.end_amdhsa_kernel
	.section	.text._ZN7rocprim17ROCPRIM_400000_NS6detail17trampoline_kernelINS0_14default_configENS1_38merge_sort_block_merge_config_selectorIN6thrust23THRUST_200600_302600_NS5tupleIffNS6_9null_typeES8_S8_S8_S8_S8_S8_S8_EENS0_10empty_typeEEEZZNS1_27merge_sort_block_merge_implIS3_NS6_6detail15normal_iteratorINS6_10device_ptrIS9_EEEEPSA_mNS6_4lessIS9_EEEE10hipError_tT0_T1_T2_jT3_P12ihipStream_tbPNSt15iterator_traitsISM_E10value_typeEPNSS_ISN_E10value_typeEPSO_NS1_7vsmem_tEENKUlT_SM_SN_SO_E_clISH_PS9_SI_SI_EESL_S11_SM_SN_SO_EUlS11_E0_NS1_11comp_targetILNS1_3genE10ELNS1_11target_archE1201ELNS1_3gpuE5ELNS1_3repE0EEENS1_38merge_mergepath_config_static_selectorELNS0_4arch9wavefront6targetE1EEEvSN_,"axG",@progbits,_ZN7rocprim17ROCPRIM_400000_NS6detail17trampoline_kernelINS0_14default_configENS1_38merge_sort_block_merge_config_selectorIN6thrust23THRUST_200600_302600_NS5tupleIffNS6_9null_typeES8_S8_S8_S8_S8_S8_S8_EENS0_10empty_typeEEEZZNS1_27merge_sort_block_merge_implIS3_NS6_6detail15normal_iteratorINS6_10device_ptrIS9_EEEEPSA_mNS6_4lessIS9_EEEE10hipError_tT0_T1_T2_jT3_P12ihipStream_tbPNSt15iterator_traitsISM_E10value_typeEPNSS_ISN_E10value_typeEPSO_NS1_7vsmem_tEENKUlT_SM_SN_SO_E_clISH_PS9_SI_SI_EESL_S11_SM_SN_SO_EUlS11_E0_NS1_11comp_targetILNS1_3genE10ELNS1_11target_archE1201ELNS1_3gpuE5ELNS1_3repE0EEENS1_38merge_mergepath_config_static_selectorELNS0_4arch9wavefront6targetE1EEEvSN_,comdat
.Lfunc_end60:
	.size	_ZN7rocprim17ROCPRIM_400000_NS6detail17trampoline_kernelINS0_14default_configENS1_38merge_sort_block_merge_config_selectorIN6thrust23THRUST_200600_302600_NS5tupleIffNS6_9null_typeES8_S8_S8_S8_S8_S8_S8_EENS0_10empty_typeEEEZZNS1_27merge_sort_block_merge_implIS3_NS6_6detail15normal_iteratorINS6_10device_ptrIS9_EEEEPSA_mNS6_4lessIS9_EEEE10hipError_tT0_T1_T2_jT3_P12ihipStream_tbPNSt15iterator_traitsISM_E10value_typeEPNSS_ISN_E10value_typeEPSO_NS1_7vsmem_tEENKUlT_SM_SN_SO_E_clISH_PS9_SI_SI_EESL_S11_SM_SN_SO_EUlS11_E0_NS1_11comp_targetILNS1_3genE10ELNS1_11target_archE1201ELNS1_3gpuE5ELNS1_3repE0EEENS1_38merge_mergepath_config_static_selectorELNS0_4arch9wavefront6targetE1EEEvSN_, .Lfunc_end60-_ZN7rocprim17ROCPRIM_400000_NS6detail17trampoline_kernelINS0_14default_configENS1_38merge_sort_block_merge_config_selectorIN6thrust23THRUST_200600_302600_NS5tupleIffNS6_9null_typeES8_S8_S8_S8_S8_S8_S8_EENS0_10empty_typeEEEZZNS1_27merge_sort_block_merge_implIS3_NS6_6detail15normal_iteratorINS6_10device_ptrIS9_EEEEPSA_mNS6_4lessIS9_EEEE10hipError_tT0_T1_T2_jT3_P12ihipStream_tbPNSt15iterator_traitsISM_E10value_typeEPNSS_ISN_E10value_typeEPSO_NS1_7vsmem_tEENKUlT_SM_SN_SO_E_clISH_PS9_SI_SI_EESL_S11_SM_SN_SO_EUlS11_E0_NS1_11comp_targetILNS1_3genE10ELNS1_11target_archE1201ELNS1_3gpuE5ELNS1_3repE0EEENS1_38merge_mergepath_config_static_selectorELNS0_4arch9wavefront6targetE1EEEvSN_
                                        ; -- End function
	.section	.AMDGPU.csdata,"",@progbits
; Kernel info:
; codeLenInByte = 0
; NumSgprs: 6
; NumVgprs: 0
; NumAgprs: 0
; TotalNumVgprs: 0
; ScratchSize: 0
; MemoryBound: 0
; FloatMode: 240
; IeeeMode: 1
; LDSByteSize: 0 bytes/workgroup (compile time only)
; SGPRBlocks: 0
; VGPRBlocks: 0
; NumSGPRsForWavesPerEU: 6
; NumVGPRsForWavesPerEU: 1
; AccumOffset: 4
; Occupancy: 8
; WaveLimiterHint : 0
; COMPUTE_PGM_RSRC2:SCRATCH_EN: 0
; COMPUTE_PGM_RSRC2:USER_SGPR: 2
; COMPUTE_PGM_RSRC2:TRAP_HANDLER: 0
; COMPUTE_PGM_RSRC2:TGID_X_EN: 1
; COMPUTE_PGM_RSRC2:TGID_Y_EN: 0
; COMPUTE_PGM_RSRC2:TGID_Z_EN: 0
; COMPUTE_PGM_RSRC2:TIDIG_COMP_CNT: 0
; COMPUTE_PGM_RSRC3_GFX90A:ACCUM_OFFSET: 0
; COMPUTE_PGM_RSRC3_GFX90A:TG_SPLIT: 0
	.section	.text._ZN7rocprim17ROCPRIM_400000_NS6detail17trampoline_kernelINS0_14default_configENS1_38merge_sort_block_merge_config_selectorIN6thrust23THRUST_200600_302600_NS5tupleIffNS6_9null_typeES8_S8_S8_S8_S8_S8_S8_EENS0_10empty_typeEEEZZNS1_27merge_sort_block_merge_implIS3_NS6_6detail15normal_iteratorINS6_10device_ptrIS9_EEEEPSA_mNS6_4lessIS9_EEEE10hipError_tT0_T1_T2_jT3_P12ihipStream_tbPNSt15iterator_traitsISM_E10value_typeEPNSS_ISN_E10value_typeEPSO_NS1_7vsmem_tEENKUlT_SM_SN_SO_E_clISH_PS9_SI_SI_EESL_S11_SM_SN_SO_EUlS11_E0_NS1_11comp_targetILNS1_3genE5ELNS1_11target_archE942ELNS1_3gpuE9ELNS1_3repE0EEENS1_38merge_mergepath_config_static_selectorELNS0_4arch9wavefront6targetE1EEEvSN_,"axG",@progbits,_ZN7rocprim17ROCPRIM_400000_NS6detail17trampoline_kernelINS0_14default_configENS1_38merge_sort_block_merge_config_selectorIN6thrust23THRUST_200600_302600_NS5tupleIffNS6_9null_typeES8_S8_S8_S8_S8_S8_S8_EENS0_10empty_typeEEEZZNS1_27merge_sort_block_merge_implIS3_NS6_6detail15normal_iteratorINS6_10device_ptrIS9_EEEEPSA_mNS6_4lessIS9_EEEE10hipError_tT0_T1_T2_jT3_P12ihipStream_tbPNSt15iterator_traitsISM_E10value_typeEPNSS_ISN_E10value_typeEPSO_NS1_7vsmem_tEENKUlT_SM_SN_SO_E_clISH_PS9_SI_SI_EESL_S11_SM_SN_SO_EUlS11_E0_NS1_11comp_targetILNS1_3genE5ELNS1_11target_archE942ELNS1_3gpuE9ELNS1_3repE0EEENS1_38merge_mergepath_config_static_selectorELNS0_4arch9wavefront6targetE1EEEvSN_,comdat
	.protected	_ZN7rocprim17ROCPRIM_400000_NS6detail17trampoline_kernelINS0_14default_configENS1_38merge_sort_block_merge_config_selectorIN6thrust23THRUST_200600_302600_NS5tupleIffNS6_9null_typeES8_S8_S8_S8_S8_S8_S8_EENS0_10empty_typeEEEZZNS1_27merge_sort_block_merge_implIS3_NS6_6detail15normal_iteratorINS6_10device_ptrIS9_EEEEPSA_mNS6_4lessIS9_EEEE10hipError_tT0_T1_T2_jT3_P12ihipStream_tbPNSt15iterator_traitsISM_E10value_typeEPNSS_ISN_E10value_typeEPSO_NS1_7vsmem_tEENKUlT_SM_SN_SO_E_clISH_PS9_SI_SI_EESL_S11_SM_SN_SO_EUlS11_E0_NS1_11comp_targetILNS1_3genE5ELNS1_11target_archE942ELNS1_3gpuE9ELNS1_3repE0EEENS1_38merge_mergepath_config_static_selectorELNS0_4arch9wavefront6targetE1EEEvSN_ ; -- Begin function _ZN7rocprim17ROCPRIM_400000_NS6detail17trampoline_kernelINS0_14default_configENS1_38merge_sort_block_merge_config_selectorIN6thrust23THRUST_200600_302600_NS5tupleIffNS6_9null_typeES8_S8_S8_S8_S8_S8_S8_EENS0_10empty_typeEEEZZNS1_27merge_sort_block_merge_implIS3_NS6_6detail15normal_iteratorINS6_10device_ptrIS9_EEEEPSA_mNS6_4lessIS9_EEEE10hipError_tT0_T1_T2_jT3_P12ihipStream_tbPNSt15iterator_traitsISM_E10value_typeEPNSS_ISN_E10value_typeEPSO_NS1_7vsmem_tEENKUlT_SM_SN_SO_E_clISH_PS9_SI_SI_EESL_S11_SM_SN_SO_EUlS11_E0_NS1_11comp_targetILNS1_3genE5ELNS1_11target_archE942ELNS1_3gpuE9ELNS1_3repE0EEENS1_38merge_mergepath_config_static_selectorELNS0_4arch9wavefront6targetE1EEEvSN_
	.globl	_ZN7rocprim17ROCPRIM_400000_NS6detail17trampoline_kernelINS0_14default_configENS1_38merge_sort_block_merge_config_selectorIN6thrust23THRUST_200600_302600_NS5tupleIffNS6_9null_typeES8_S8_S8_S8_S8_S8_S8_EENS0_10empty_typeEEEZZNS1_27merge_sort_block_merge_implIS3_NS6_6detail15normal_iteratorINS6_10device_ptrIS9_EEEEPSA_mNS6_4lessIS9_EEEE10hipError_tT0_T1_T2_jT3_P12ihipStream_tbPNSt15iterator_traitsISM_E10value_typeEPNSS_ISN_E10value_typeEPSO_NS1_7vsmem_tEENKUlT_SM_SN_SO_E_clISH_PS9_SI_SI_EESL_S11_SM_SN_SO_EUlS11_E0_NS1_11comp_targetILNS1_3genE5ELNS1_11target_archE942ELNS1_3gpuE9ELNS1_3repE0EEENS1_38merge_mergepath_config_static_selectorELNS0_4arch9wavefront6targetE1EEEvSN_
	.p2align	8
	.type	_ZN7rocprim17ROCPRIM_400000_NS6detail17trampoline_kernelINS0_14default_configENS1_38merge_sort_block_merge_config_selectorIN6thrust23THRUST_200600_302600_NS5tupleIffNS6_9null_typeES8_S8_S8_S8_S8_S8_S8_EENS0_10empty_typeEEEZZNS1_27merge_sort_block_merge_implIS3_NS6_6detail15normal_iteratorINS6_10device_ptrIS9_EEEEPSA_mNS6_4lessIS9_EEEE10hipError_tT0_T1_T2_jT3_P12ihipStream_tbPNSt15iterator_traitsISM_E10value_typeEPNSS_ISN_E10value_typeEPSO_NS1_7vsmem_tEENKUlT_SM_SN_SO_E_clISH_PS9_SI_SI_EESL_S11_SM_SN_SO_EUlS11_E0_NS1_11comp_targetILNS1_3genE5ELNS1_11target_archE942ELNS1_3gpuE9ELNS1_3repE0EEENS1_38merge_mergepath_config_static_selectorELNS0_4arch9wavefront6targetE1EEEvSN_,@function
_ZN7rocprim17ROCPRIM_400000_NS6detail17trampoline_kernelINS0_14default_configENS1_38merge_sort_block_merge_config_selectorIN6thrust23THRUST_200600_302600_NS5tupleIffNS6_9null_typeES8_S8_S8_S8_S8_S8_S8_EENS0_10empty_typeEEEZZNS1_27merge_sort_block_merge_implIS3_NS6_6detail15normal_iteratorINS6_10device_ptrIS9_EEEEPSA_mNS6_4lessIS9_EEEE10hipError_tT0_T1_T2_jT3_P12ihipStream_tbPNSt15iterator_traitsISM_E10value_typeEPNSS_ISN_E10value_typeEPSO_NS1_7vsmem_tEENKUlT_SM_SN_SO_E_clISH_PS9_SI_SI_EESL_S11_SM_SN_SO_EUlS11_E0_NS1_11comp_targetILNS1_3genE5ELNS1_11target_archE942ELNS1_3gpuE9ELNS1_3repE0EEENS1_38merge_mergepath_config_static_selectorELNS0_4arch9wavefront6targetE1EEEvSN_: ; @_ZN7rocprim17ROCPRIM_400000_NS6detail17trampoline_kernelINS0_14default_configENS1_38merge_sort_block_merge_config_selectorIN6thrust23THRUST_200600_302600_NS5tupleIffNS6_9null_typeES8_S8_S8_S8_S8_S8_S8_EENS0_10empty_typeEEEZZNS1_27merge_sort_block_merge_implIS3_NS6_6detail15normal_iteratorINS6_10device_ptrIS9_EEEEPSA_mNS6_4lessIS9_EEEE10hipError_tT0_T1_T2_jT3_P12ihipStream_tbPNSt15iterator_traitsISM_E10value_typeEPNSS_ISN_E10value_typeEPSO_NS1_7vsmem_tEENKUlT_SM_SN_SO_E_clISH_PS9_SI_SI_EESL_S11_SM_SN_SO_EUlS11_E0_NS1_11comp_targetILNS1_3genE5ELNS1_11target_archE942ELNS1_3gpuE9ELNS1_3repE0EEENS1_38merge_mergepath_config_static_selectorELNS0_4arch9wavefront6targetE1EEEvSN_
; %bb.0:
	s_load_dwordx2 s[22:23], s[0:1], 0x48
	s_load_dword s5, s[0:1], 0x38
	s_add_u32 s18, s0, 0x48
	s_addc_u32 s19, s1, 0
	s_waitcnt lgkmcnt(0)
	s_mul_i32 s4, s23, s4
	s_add_i32 s3, s4, s3
	s_mul_i32 s3, s3, s22
	s_add_i32 s20, s3, s2
	s_cmp_ge_u32 s20, s5
	s_cbranch_scc1 .LBB61_97
; %bb.1:
	s_load_dwordx2 s[12:13], s[0:1], 0x40
	s_load_dwordx4 s[8:11], s[0:1], 0x8
	s_load_dwordx4 s[4:7], s[0:1], 0x28
	s_mov_b32 s21, 0
	s_lshl_b64 s[0:1], s[20:21], 3
	s_waitcnt lgkmcnt(0)
	s_add_u32 s0, s12, s0
	s_addc_u32 s1, s13, s1
	v_mov_b32_e32 v1, s6
	v_alignbit_b32 v1, s7, v1, 9
	s_load_dwordx4 s[12:15], s[0:1], 0x0
	v_readfirstlane_b32 s0, v1
	s_and_b32 s0, s0, -2
	s_sub_i32 s30, 0, s0
	s_and_b32 s24, s20, s30
	s_mov_b32 s25, s21
	s_lshl_b64 s[0:1], s[24:25], 10
	s_lshl_b64 s[16:17], s[20:21], 10
	s_sub_u32 s3, s16, s0
	s_subb_u32 s23, s17, s1
	s_lshl_b64 s[24:25], s[24:25], 11
	s_add_u32 s24, s24, s6
	s_addc_u32 s25, s25, s7
	s_add_u32 s3, s24, s3
	s_addc_u32 s23, s25, s23
	s_waitcnt lgkmcnt(0)
	s_sub_u32 s26, s3, s14
	s_subb_u32 s15, s23, s15
	s_add_u32 s26, s26, 0x400
	s_addc_u32 s27, s15, 0
	v_mov_b64_e32 v[2:3], s[26:27]
	v_cmp_lt_u64_e32 vcc, s[4:5], v[2:3]
	s_and_b64 s[28:29], vcc, exec
	s_cselect_b32 s15, s4, s26
	s_or_b32 s26, s20, s30
	s_cmp_lg_u32 s26, -1
	s_cbranch_scc1 .LBB61_3
; %bb.2:
	s_sub_u32 s0, s24, s0
	s_subb_u32 s1, s25, s1
	v_mov_b64_e32 v[2:3], s[0:1]
	v_cmp_lt_u64_e32 vcc, s[4:5], v[2:3]
	s_and_b64 s[14:15], vcc, exec
	s_cselect_b32 s14, s4, s0
	s_add_u32 s0, s0, s6
	s_addc_u32 s1, s1, s7
	v_mov_b64_e32 v[2:3], s[0:1]
	v_cmp_lt_u64_e32 vcc, s[4:5], v[2:3]
	s_and_b64 s[6:7], vcc, exec
	s_cselect_b32 s15, s4, s0
.LBB61_3:
	s_lshr_b64 s[24:25], s[4:5], 10
	s_cmp_lg_u64 s[24:25], s[20:21]
	s_cselect_b64 s[6:7], -1, 0
	s_sub_u32 s0, s3, s12
	s_subb_u32 s1, s23, s13
	v_mov_b64_e32 v[2:3], s[0:1]
	v_cmp_lt_u64_e32 vcc, s[4:5], v[2:3]
	s_and_b64 s[26:27], vcc, exec
	s_cselect_b32 s26, s4, s0
	s_cselect_b32 s27, s5, s1
	s_sub_i32 s5, s14, s12
	s_sub_i32 s14, s15, s26
	s_lshl_b64 s[0:1], s[12:13], 3
	s_add_u32 s0, s8, s0
	s_addc_u32 s1, s9, s1
	s_lshl_b64 s[12:13], s[26:27], 3
	s_add_u32 s8, s8, s12
	s_addc_u32 s9, s9, s13
	s_cmp_lt_u32 s2, s22
	v_mov_b32_e32 v5, 0
	s_cselect_b32 s2, 12, 18
	global_load_dword v1, v5, s[18:19] offset:14
	s_add_u32 s2, s18, s2
	s_addc_u32 s3, s19, 0
	global_load_ushort v2, v5, s[2:3]
	s_cmp_eq_u64 s[24:25], s[20:21]
	v_lshlrev_b32_e32 v14, 3, v0
	s_waitcnt vmcnt(1)
	v_lshrrev_b32_e32 v3, 16, v1
	v_and_b32_e32 v1, 0xffff, v1
	v_mul_lo_u32 v1, v1, v3
	s_waitcnt vmcnt(0)
	v_mul_lo_u32 v1, v1, v2
	v_add_u32_e32 v26, v1, v0
	v_add_u32_e32 v24, v26, v1
	s_cbranch_scc1 .LBB61_6
; %bb.4:
	v_subrev_u32_e32 v4, s5, v0
	v_mov_b32_e32 v15, v5
	v_lshl_add_u64 v[2:3], v[4:5], 3, s[8:9]
	v_lshl_add_u64 v[6:7], s[0:1], 0, v[14:15]
	v_cmp_gt_u32_e32 vcc, s5, v0
	v_subrev_u32_e32 v4, s5, v26
	v_mov_b32_e32 v27, v5
	v_cndmask_b32_e32 v3, v3, v7, vcc
	v_cndmask_b32_e32 v2, v2, v6, vcc
	v_lshl_add_u64 v[6:7], v[4:5], 3, s[8:9]
	v_lshl_add_u64 v[8:9], v[26:27], 3, s[0:1]
	v_cmp_gt_u32_e32 vcc, s5, v26
	v_subrev_u32_e32 v4, s5, v24
	v_mov_b32_e32 v25, v5
	v_cndmask_b32_e32 v7, v7, v9, vcc
	v_cndmask_b32_e32 v6, v6, v8, vcc
	global_load_dwordx2 v[16:17], v[6:7], off
	v_lshl_add_u64 v[6:7], v[4:5], 3, s[8:9]
	v_lshl_add_u64 v[8:9], v[24:25], 3, s[0:1]
	v_cmp_gt_u32_e32 vcc, s5, v24
	global_load_dwordx2 v[2:3], v[2:3], off
	s_add_i32 s15, s5, s14
	v_cndmask_b32_e32 v6, v6, v8, vcc
	v_add_u32_e32 v8, v24, v1
	v_cndmask_b32_e32 v7, v7, v9, vcc
	v_subrev_u32_e32 v4, s5, v8
	v_mov_b32_e32 v9, v5
	v_lshl_add_u64 v[10:11], v[4:5], 3, s[8:9]
	v_lshl_add_u64 v[12:13], v[8:9], 3, s[0:1]
	v_cmp_gt_u32_e32 vcc, s5, v8
	v_add_u32_e32 v8, v8, v1
	v_subrev_u32_e32 v4, s5, v8
	v_cndmask_b32_e32 v11, v11, v13, vcc
	v_cndmask_b32_e32 v10, v10, v12, vcc
	v_lshl_add_u64 v[12:13], v[8:9], 3, s[0:1]
	v_cmp_gt_u32_e32 vcc, s5, v8
	v_add_u32_e32 v8, v8, v1
	global_load_dwordx2 v[18:19], v[10:11], off
	v_lshl_add_u64 v[10:11], v[4:5], 3, s[8:9]
	v_subrev_u32_e32 v4, s5, v8
	v_cndmask_b32_e32 v11, v11, v13, vcc
	v_cndmask_b32_e32 v10, v10, v12, vcc
	v_lshl_add_u64 v[12:13], v[4:5], 3, s[8:9]
	v_lshl_add_u64 v[20:21], v[8:9], 3, s[0:1]
	v_cmp_gt_u32_e32 vcc, s5, v8
	v_add_u32_e32 v8, v8, v1
	v_subrev_u32_e32 v4, s5, v8
	v_cndmask_b32_e32 v13, v13, v21, vcc
	v_cndmask_b32_e32 v12, v12, v20, vcc
	global_load_dwordx2 v[20:21], v[12:13], off
	v_lshl_add_u64 v[12:13], v[4:5], 3, s[8:9]
	v_lshl_add_u64 v[4:5], v[8:9], 3, s[0:1]
	v_cmp_gt_u32_e32 vcc, s5, v8
	global_load_dwordx2 v[6:7], v[6:7], off
	v_add_u32_e32 v28, v8, v1
	v_cndmask_b32_e32 v5, v13, v5, vcc
	v_cndmask_b32_e32 v4, v12, v4, vcc
	global_load_dwordx2 v[10:11], v[10:11], off
	s_nop 0
	global_load_dwordx2 v[22:23], v[4:5], off
	s_mov_b64 s[2:3], -1
	s_cbranch_execz .LBB61_7
; %bb.5:
                                        ; implicit-def: $sgpr12_sgpr13
	v_mov_b32_e32 v1, s15
	v_mov_b64_e32 v[4:5], s[12:13]
	s_and_saveexec_b64 s[12:13], s[2:3]
	s_cbranch_execnz .LBB61_22
	s_branch .LBB61_23
.LBB61_6:
	s_mov_b64 s[2:3], 0
                                        ; implicit-def: $vgpr22_vgpr23
                                        ; implicit-def: $vgpr20_vgpr21
                                        ; implicit-def: $vgpr18_vgpr19
                                        ; implicit-def: $vgpr16_vgpr17
                                        ; implicit-def: $vgpr28
                                        ; implicit-def: $sgpr15
                                        ; implicit-def: $vgpr10_vgpr11_vgpr12_vgpr13
                                        ; implicit-def: $vgpr6_vgpr7_vgpr8_vgpr9
                                        ; implicit-def: $vgpr2_vgpr3_vgpr4_vgpr5
.LBB61_7:
	s_mov_b32 s2, 0
	s_add_i32 s15, s5, s14
	s_mov_b32 s3, s2
	v_cmp_gt_u32_e32 vcc, s15, v0
	s_waitcnt vmcnt(5)
	v_mov_b64_e32 v[2:3], s[2:3]
	s_and_saveexec_b64 s[12:13], vcc
	s_cbranch_execz .LBB61_9
; %bb.8:
	v_mov_b32_e32 v15, 0
	v_subrev_u32_e32 v4, s5, v0
	v_mov_b32_e32 v5, v15
	v_lshl_add_u64 v[2:3], s[0:1], 0, v[14:15]
	v_lshl_add_u64 v[4:5], v[4:5], 3, s[8:9]
	v_cmp_gt_u32_e32 vcc, s5, v0
	s_nop 1
	v_cndmask_b32_e32 v3, v5, v3, vcc
	v_cndmask_b32_e32 v2, v4, v2, vcc
	global_load_dwordx2 v[2:3], v[2:3], off
.LBB61_9:
	s_or_b64 exec, exec, s[12:13]
	v_cmp_gt_u32_e32 vcc, s15, v26
	v_mov_b64_e32 v[16:17], s[2:3]
	s_and_saveexec_b64 s[2:3], vcc
	s_cbranch_execz .LBB61_11
; %bb.10:
	v_mov_b32_e32 v27, 0
	v_lshl_add_u64 v[4:5], v[26:27], 3, s[0:1]
	v_cmp_gt_u32_e32 vcc, s5, v26
	v_subrev_u32_e32 v26, s5, v26
	s_waitcnt vmcnt(2)
	v_lshl_add_u64 v[6:7], v[26:27], 3, s[8:9]
	v_cndmask_b32_e32 v5, v7, v5, vcc
	v_cndmask_b32_e32 v4, v6, v4, vcc
	global_load_dwordx2 v[16:17], v[4:5], off
.LBB61_11:
	s_or_b64 exec, exec, s[2:3]
	s_mov_b32 s2, 0
	s_mov_b32 s3, s2
	v_cmp_gt_u32_e32 vcc, s15, v24
	s_waitcnt vmcnt(2)
	v_mov_b64_e32 v[6:7], s[2:3]
	s_and_saveexec_b64 s[12:13], vcc
	s_cbranch_execz .LBB61_13
; %bb.12:
	v_mov_b32_e32 v25, 0
	v_subrev_u32_e32 v6, s5, v24
	v_mov_b32_e32 v7, v25
	v_lshl_add_u64 v[4:5], v[24:25], 3, s[0:1]
	v_lshl_add_u64 v[6:7], v[6:7], 3, s[8:9]
	v_cmp_gt_u32_e32 vcc, s5, v24
	s_nop 1
	v_cndmask_b32_e32 v5, v7, v5, vcc
	v_cndmask_b32_e32 v4, v6, v4, vcc
	global_load_dwordx2 v[6:7], v[4:5], off
.LBB61_13:
	s_or_b64 exec, exec, s[12:13]
	v_add_u32_e32 v4, v24, v1
	v_cmp_gt_u32_e32 vcc, s15, v4
	v_mov_b64_e32 v[18:19], s[2:3]
	s_and_saveexec_b64 s[2:3], vcc
	s_cbranch_execz .LBB61_15
; %bb.14:
	v_mov_b32_e32 v5, 0
	s_waitcnt vmcnt(1)
	v_subrev_u32_e32 v10, s5, v4
	v_mov_b32_e32 v11, v5
	v_lshl_add_u64 v[8:9], v[4:5], 3, s[0:1]
	v_lshl_add_u64 v[10:11], v[10:11], 3, s[8:9]
	v_cmp_gt_u32_e32 vcc, s5, v4
	s_nop 1
	v_cndmask_b32_e32 v9, v11, v9, vcc
	v_cndmask_b32_e32 v8, v10, v8, vcc
	global_load_dwordx2 v[18:19], v[8:9], off
.LBB61_15:
	s_or_b64 exec, exec, s[2:3]
	s_mov_b32 s2, 0
	v_add_u32_e32 v4, v4, v1
	s_mov_b32 s3, s2
	v_cmp_gt_u32_e32 vcc, s15, v4
	s_waitcnt vmcnt(1)
	v_mov_b64_e32 v[10:11], s[2:3]
	s_and_saveexec_b64 s[12:13], vcc
	s_cbranch_execz .LBB61_17
; %bb.16:
	v_mov_b32_e32 v5, 0
	v_subrev_u32_e32 v10, s5, v4
	v_mov_b32_e32 v11, v5
	v_lshl_add_u64 v[8:9], v[4:5], 3, s[0:1]
	v_lshl_add_u64 v[10:11], v[10:11], 3, s[8:9]
	v_cmp_gt_u32_e32 vcc, s5, v4
	s_nop 1
	v_cndmask_b32_e32 v9, v11, v9, vcc
	v_cndmask_b32_e32 v8, v10, v8, vcc
	global_load_dwordx2 v[10:11], v[8:9], off
.LBB61_17:
	s_or_b64 exec, exec, s[12:13]
	v_add_u32_e32 v4, v4, v1
	v_cmp_gt_u32_e32 vcc, s15, v4
	v_mov_b64_e32 v[20:21], s[2:3]
	s_and_saveexec_b64 s[2:3], vcc
	s_cbranch_execz .LBB61_19
; %bb.18:
	v_mov_b32_e32 v5, 0
	v_subrev_u32_e32 v12, s5, v4
	v_mov_b32_e32 v13, v5
	v_lshl_add_u64 v[8:9], v[4:5], 3, s[0:1]
	v_lshl_add_u64 v[12:13], v[12:13], 3, s[8:9]
	v_cmp_gt_u32_e32 vcc, s5, v4
	s_nop 1
	v_cndmask_b32_e32 v9, v13, v9, vcc
	v_cndmask_b32_e32 v8, v12, v8, vcc
	global_load_dwordx2 v[20:21], v[8:9], off
.LBB61_19:
	s_or_b64 exec, exec, s[2:3]
	s_mov_b32 s12, 0
	v_add_u32_e32 v4, v4, v1
	s_mov_b32 s13, s12
	v_cmp_gt_u32_e32 vcc, s15, v4
	s_waitcnt vmcnt(0)
	v_mov_b64_e32 v[22:23], s[12:13]
	s_and_saveexec_b64 s[2:3], vcc
	s_cbranch_execz .LBB61_21
; %bb.20:
	v_mov_b32_e32 v5, 0
	v_subrev_u32_e32 v12, s5, v4
	v_mov_b32_e32 v13, v5
	v_lshl_add_u64 v[8:9], v[4:5], 3, s[0:1]
	v_lshl_add_u64 v[12:13], v[12:13], 3, s[8:9]
	v_cmp_gt_u32_e32 vcc, s5, v4
	s_nop 1
	v_cndmask_b32_e32 v9, v13, v9, vcc
	v_cndmask_b32_e32 v8, v12, v8, vcc
	global_load_dwordx2 v[22:23], v[8:9], off
.LBB61_21:
	s_or_b64 exec, exec, s[2:3]
	v_add_u32_e32 v28, v4, v1
	v_cmp_gt_u32_e64 s[2:3], s15, v28
	v_mov_b32_e32 v1, s15
	v_mov_b64_e32 v[4:5], s[12:13]
	s_and_saveexec_b64 s[12:13], s[2:3]
	s_cbranch_execz .LBB61_23
.LBB61_22:
	v_mov_b32_e32 v5, 0
	v_subrev_u32_e32 v4, s5, v28
	v_mov_b32_e32 v29, v5
	v_lshl_add_u64 v[8:9], v[4:5], 3, s[8:9]
	v_lshl_add_u64 v[4:5], v[28:29], 3, s[0:1]
	v_cmp_gt_u32_e32 vcc, s5, v28
	v_mov_b32_e32 v1, s15
	s_nop 0
	v_cndmask_b32_e32 v5, v9, v5, vcc
	v_cndmask_b32_e32 v4, v8, v4, vcc
	global_load_dwordx2 v[4:5], v[4:5], off
.LBB61_23:
	s_or_b64 exec, exec, s[12:13]
	v_min_u32_e32 v8, v1, v14
	v_sub_u32_e64 v15, v8, s14 clamp
	v_min_u32_e32 v9, s5, v8
	v_cmp_lt_u32_e32 vcc, v15, v9
	s_waitcnt vmcnt(5)
	ds_write2st64_b64 v14, v[2:3], v[16:17] offset1:2
	s_waitcnt vmcnt(2)
	ds_write2st64_b64 v14, v[6:7], v[18:19] offset0:4 offset1:6
	s_waitcnt vmcnt(1)
	ds_write2st64_b64 v14, v[10:11], v[20:21] offset0:8 offset1:10
	s_waitcnt vmcnt(0)
	ds_write2st64_b64 v14, v[22:23], v[4:5] offset0:12 offset1:14
	s_waitcnt lgkmcnt(0)
	s_barrier
	s_and_saveexec_b64 s[0:1], vcc
	s_cbranch_execz .LBB61_31
; %bb.24:
	v_lshlrev_b32_e32 v12, 3, v8
	v_lshl_add_u32 v12, s5, 3, v12
	s_mov_b64 s[2:3], 0
                                        ; implicit-def: $sgpr8_sgpr9
	s_branch .LBB61_27
.LBB61_25:                              ;   in Loop: Header=BB61_27 Depth=1
	s_or_b64 exec, exec, s[18:19]
	s_andn2_b64 s[8:9], s[8:9], exec
	s_and_b64 s[14:15], s[14:15], exec
	s_or_b64 s[8:9], s[8:9], s[14:15]
.LBB61_26:                              ;   in Loop: Header=BB61_27 Depth=1
	s_or_b64 exec, exec, s[12:13]
	v_add_u32_e32 v24, 1, v13
	v_cndmask_b32_e64 v9, v9, v13, s[8:9]
	v_cndmask_b32_e64 v15, v24, v15, s[8:9]
	v_cmp_ge_u32_e32 vcc, v15, v9
	s_or_b64 s[2:3], vcc, s[2:3]
	s_andn2_b64 exec, exec, s[2:3]
	s_cbranch_execz .LBB61_30
.LBB61_27:                              ; =>This Inner Loop Header: Depth=1
	v_add_u32_e32 v13, v9, v15
	v_lshrrev_b32_e32 v13, 1, v13
	v_not_b32_e32 v25, v13
	v_lshlrev_b32_e32 v24, 3, v13
	v_lshl_add_u32 v25, v25, 3, v12
	ds_read_b32 v26, v24
	ds_read_b32 v27, v25
	s_or_b64 s[8:9], s[8:9], exec
	s_waitcnt lgkmcnt(0)
	v_cmp_nlt_f32_e32 vcc, v27, v26
	s_and_saveexec_b64 s[12:13], vcc
	s_cbranch_execz .LBB61_26
; %bb.28:                               ;   in Loop: Header=BB61_27 Depth=1
	v_cmp_nlt_f32_e32 vcc, v26, v27
	s_mov_b64 s[14:15], 0
	s_and_saveexec_b64 s[18:19], vcc
	s_cbranch_execz .LBB61_25
; %bb.29:                               ;   in Loop: Header=BB61_27 Depth=1
	ds_read_b32 v25, v25 offset:4
	ds_read_b32 v24, v24 offset:4
	s_waitcnt lgkmcnt(0)
	v_cmp_lt_f32_e32 vcc, v25, v24
	s_and_b64 s[14:15], vcc, exec
	s_branch .LBB61_25
.LBB61_30:
	s_or_b64 exec, exec, s[2:3]
.LBB61_31:
	s_or_b64 exec, exec, s[0:1]
	v_sub_u32_e32 v8, v8, v15
	v_add_u32_e32 v24, s5, v8
	v_cmp_ge_u32_e32 vcc, s5, v15
	v_cmp_le_u32_e64 s[0:1], v24, v1
	s_or_b64 s[0:1], vcc, s[0:1]
	s_and_saveexec_b64 s[2:3], s[0:1]
	s_cbranch_execz .LBB61_85
; %bb.32:
	v_cmp_le_u32_e32 vcc, s5, v15
	v_cmp_gt_u32_e64 s[0:1], s5, v15
	v_mov_b32_e32 v2, 0
	v_mov_b32_e32 v4, 0
	;; [unrolled: 1-line block ×3, first 2 shown]
	s_and_saveexec_b64 s[8:9], s[0:1]
	s_cbranch_execz .LBB61_34
; %bb.33:
	v_lshlrev_b32_e32 v3, 3, v15
	ds_read_b64 v[4:5], v3
.LBB61_34:
	s_or_b64 exec, exec, s[8:9]
	v_cmp_ge_u32_e64 s[8:9], v24, v1
	v_cmp_lt_u32_e64 s[0:1], v24, v1
	v_mov_b32_e32 v3, 0
	s_and_saveexec_b64 s[12:13], s[0:1]
	s_cbranch_execz .LBB61_36
; %bb.35:
	v_lshlrev_b32_e32 v2, 3, v24
	ds_read_b64 v[2:3], v2
.LBB61_36:
	s_or_b64 exec, exec, s[12:13]
	s_or_b64 s[0:1], vcc, s[8:9]
	s_mov_b64 s[12:13], -1
	s_xor_b64 s[14:15], s[0:1], -1
	s_and_saveexec_b64 s[0:1], s[14:15]
	s_cbranch_execz .LBB61_42
; %bb.37:
	s_waitcnt lgkmcnt(0)
	v_cmp_nlt_f32_e32 vcc, v2, v4
	s_mov_b64 s[18:19], 0
	s_and_saveexec_b64 s[14:15], vcc
	s_cbranch_execz .LBB61_41
; %bb.38:
	v_cmp_nlt_f32_e32 vcc, v4, v2
	s_mov_b64 s[18:19], -1
	s_and_saveexec_b64 s[20:21], vcc
; %bb.39:
	v_cmp_nlt_f32_e32 vcc, v3, v5
	s_orn2_b64 s[18:19], vcc, exec
; %bb.40:
	s_or_b64 exec, exec, s[20:21]
	s_and_b64 s[18:19], s[18:19], exec
.LBB61_41:
	s_or_b64 exec, exec, s[14:15]
	s_andn2_b64 s[8:9], s[8:9], exec
	s_and_b64 s[14:15], s[18:19], exec
	s_or_b64 s[8:9], s[8:9], s[14:15]
.LBB61_42:
	s_or_b64 exec, exec, s[0:1]
	v_mov_b32_e32 v7, s5
	v_cndmask_b32_e64 v6, v24, v15, s[8:9]
	v_cndmask_b32_e64 v7, v1, v7, s[8:9]
	v_add_u32_e32 v11, 1, v6
	v_add_u32_e32 v6, -1, v7
	v_min_u32_e32 v6, v11, v6
	v_lshlrev_b32_e32 v6, 3, v6
	ds_read_b64 v[6:7], v6
	v_cndmask_b32_e64 v10, v11, v24, s[8:9]
	v_cndmask_b32_e64 v11, v15, v11, s[8:9]
	v_cmp_lt_u32_e32 vcc, v10, v1
	s_waitcnt lgkmcnt(0)
	v_cndmask_b32_e64 v8, v6, v2, s[8:9]
	v_cndmask_b32_e64 v9, v7, v3, s[8:9]
	;; [unrolled: 1-line block ×4, first 2 shown]
	s_and_saveexec_b64 s[14:15], vcc
	s_cbranch_execz .LBB61_48
; %bb.43:
	v_cmp_gt_u32_e32 vcc, s5, v11
	v_cmp_nlt_f32_e64 s[0:1], v8, v12
	s_and_b64 s[18:19], vcc, s[0:1]
	s_mov_b64 s[12:13], 0
	s_and_saveexec_b64 s[0:1], s[18:19]
	s_cbranch_execz .LBB61_47
; %bb.44:
	v_cmp_nlt_f32_e32 vcc, v12, v8
	s_mov_b64 s[12:13], -1
	s_and_saveexec_b64 s[18:19], vcc
; %bb.45:
	v_cmp_nlt_f32_e32 vcc, v9, v13
	s_orn2_b64 s[12:13], vcc, exec
; %bb.46:
	s_or_b64 exec, exec, s[18:19]
	s_and_b64 s[12:13], s[12:13], exec
.LBB61_47:
	s_or_b64 exec, exec, s[0:1]
	s_orn2_b64 s[12:13], s[12:13], exec
.LBB61_48:
	s_or_b64 exec, exec, s[14:15]
	v_mov_b32_e32 v7, s5
	v_cndmask_b32_e64 v6, v10, v11, s[12:13]
	v_cndmask_b32_e64 v7, v1, v7, s[12:13]
	v_add_u32_e32 v18, 1, v6
	v_add_u32_e32 v6, -1, v7
	v_min_u32_e32 v6, v18, v6
	v_lshlrev_b32_e32 v6, 3, v6
	ds_read_b64 v[16:17], v6
	v_cndmask_b32_e64 v10, v18, v10, s[12:13]
	v_cndmask_b32_e64 v11, v11, v18, s[12:13]
	v_cmp_lt_u32_e32 vcc, v10, v1
	s_mov_b64 s[18:19], -1
	s_waitcnt lgkmcnt(0)
	v_cndmask_b32_e64 v6, v16, v8, s[12:13]
	v_cndmask_b32_e64 v7, v17, v9, s[12:13]
	;; [unrolled: 1-line block ×4, first 2 shown]
	s_mov_b64 s[14:15], -1
	s_and_saveexec_b64 s[20:21], vcc
	s_cbranch_execz .LBB61_54
; %bb.49:
	v_cmp_gt_u32_e32 vcc, s5, v11
	v_cmp_nlt_f32_e64 s[0:1], v6, v15
	s_and_b64 s[22:23], vcc, s[0:1]
	s_mov_b64 s[14:15], 0
	s_and_saveexec_b64 s[0:1], s[22:23]
	s_cbranch_execz .LBB61_53
; %bb.50:
	v_cmp_nlt_f32_e32 vcc, v15, v6
	s_mov_b64 s[14:15], -1
	s_and_saveexec_b64 s[22:23], vcc
; %bb.51:
	v_cmp_nlt_f32_e32 vcc, v7, v16
	s_orn2_b64 s[14:15], vcc, exec
; %bb.52:
	s_or_b64 exec, exec, s[22:23]
	s_and_b64 s[14:15], s[14:15], exec
.LBB61_53:
	s_or_b64 exec, exec, s[0:1]
	s_orn2_b64 s[14:15], s[14:15], exec
.LBB61_54:
	s_or_b64 exec, exec, s[20:21]
	v_mov_b32_e32 v18, s5
	v_cndmask_b32_e64 v17, v10, v11, s[14:15]
	v_cndmask_b32_e64 v18, v1, v18, s[14:15]
	v_add_u32_e32 v22, 1, v17
	v_add_u32_e32 v17, -1, v18
	v_min_u32_e32 v17, v22, v17
	v_lshlrev_b32_e32 v17, 3, v17
	ds_read_b64 v[20:21], v17
	s_waitcnt lgkmcnt(0)
	v_cndmask_b32_e64 v17, v20, v6, s[14:15]
	v_cndmask_b32_e64 v24, v15, v20, s[14:15]
	;; [unrolled: 1-line block ×6, first 2 shown]
	v_cmp_lt_u32_e32 vcc, v20, v1
	s_and_saveexec_b64 s[20:21], vcc
	s_cbranch_execz .LBB61_60
; %bb.55:
	v_cmp_gt_u32_e32 vcc, s5, v21
	v_cmp_nlt_f32_e64 s[0:1], v17, v24
	s_and_b64 s[22:23], vcc, s[0:1]
	s_mov_b64 s[18:19], 0
	s_and_saveexec_b64 s[0:1], s[22:23]
	s_cbranch_execz .LBB61_59
; %bb.56:
	v_cmp_nlt_f32_e32 vcc, v24, v17
	s_mov_b64 s[18:19], -1
	s_and_saveexec_b64 s[22:23], vcc
; %bb.57:
	v_cmp_nlt_f32_e32 vcc, v18, v19
	s_orn2_b64 s[18:19], vcc, exec
; %bb.58:
	s_or_b64 exec, exec, s[22:23]
	s_and_b64 s[18:19], s[18:19], exec
.LBB61_59:
	s_or_b64 exec, exec, s[0:1]
	s_orn2_b64 s[18:19], s[18:19], exec
.LBB61_60:
	s_or_b64 exec, exec, s[20:21]
	v_mov_b32_e32 v11, s5
	v_cndmask_b32_e64 v10, v20, v21, s[18:19]
	v_cndmask_b32_e64 v11, v1, v11, s[18:19]
	v_add_u32_e32 v27, 1, v10
	v_add_u32_e32 v10, -1, v11
	v_min_u32_e32 v10, v27, v10
	v_lshlrev_b32_e32 v10, 3, v10
	ds_read_b64 v[22:23], v10
	s_mov_b64 s[22:23], -1
	s_mov_b64 s[20:21], -1
	s_waitcnt lgkmcnt(0)
	v_cndmask_b32_e64 v10, v22, v17, s[18:19]
	v_cndmask_b32_e64 v25, v24, v22, s[18:19]
	;; [unrolled: 1-line block ×6, first 2 shown]
	v_cmp_lt_u32_e32 vcc, v22, v1
	s_and_saveexec_b64 s[24:25], vcc
	s_cbranch_execz .LBB61_66
; %bb.61:
	v_cmp_gt_u32_e32 vcc, s5, v23
	v_cmp_nlt_f32_e64 s[0:1], v10, v25
	s_and_b64 s[26:27], vcc, s[0:1]
	s_mov_b64 s[20:21], 0
	s_and_saveexec_b64 s[0:1], s[26:27]
	s_cbranch_execz .LBB61_65
; %bb.62:
	v_cmp_nlt_f32_e32 vcc, v25, v10
	s_mov_b64 s[20:21], -1
	s_and_saveexec_b64 s[26:27], vcc
; %bb.63:
	v_cmp_nlt_f32_e32 vcc, v11, v26
	s_orn2_b64 s[20:21], vcc, exec
; %bb.64:
	s_or_b64 exec, exec, s[26:27]
	s_and_b64 s[20:21], s[20:21], exec
.LBB61_65:
	s_or_b64 exec, exec, s[0:1]
	s_orn2_b64 s[20:21], s[20:21], exec
.LBB61_66:
	s_or_b64 exec, exec, s[24:25]
	v_mov_b32_e32 v21, s5
	v_cndmask_b32_e64 v20, v22, v23, s[20:21]
	v_cndmask_b32_e64 v21, v1, v21, s[20:21]
	v_add_u32_e32 v30, 1, v20
	v_add_u32_e32 v20, -1, v21
	v_min_u32_e32 v20, v30, v20
	v_lshlrev_b32_e32 v20, 3, v20
	ds_read_b64 v[28:29], v20
	v_cndmask_b32_e64 v31, v30, v22, s[20:21]
	v_cndmask_b32_e64 v32, v23, v30, s[20:21]
	v_cmp_lt_u32_e32 vcc, v31, v1
	s_waitcnt lgkmcnt(0)
	v_cndmask_b32_e64 v20, v28, v10, s[20:21]
	v_cndmask_b32_e64 v21, v29, v11, s[20:21]
	;; [unrolled: 1-line block ×4, first 2 shown]
	s_and_saveexec_b64 s[24:25], vcc
	s_cbranch_execz .LBB61_72
; %bb.67:
	v_cmp_gt_u32_e32 vcc, s5, v32
	v_cmp_nlt_f32_e64 s[0:1], v20, v27
	s_and_b64 s[26:27], vcc, s[0:1]
	s_mov_b64 s[22:23], 0
	s_and_saveexec_b64 s[0:1], s[26:27]
	s_cbranch_execz .LBB61_71
; %bb.68:
	v_cmp_nlt_f32_e32 vcc, v27, v20
	s_mov_b64 s[22:23], -1
	s_and_saveexec_b64 s[26:27], vcc
; %bb.69:
	v_cmp_nlt_f32_e32 vcc, v21, v28
	s_orn2_b64 s[22:23], vcc, exec
; %bb.70:
	s_or_b64 exec, exec, s[26:27]
	s_and_b64 s[22:23], s[22:23], exec
.LBB61_71:
	s_or_b64 exec, exec, s[0:1]
	s_orn2_b64 s[22:23], s[22:23], exec
.LBB61_72:
	s_or_b64 exec, exec, s[24:25]
	v_mov_b32_e32 v23, s5
	v_cndmask_b32_e64 v22, v31, v32, s[22:23]
	v_cndmask_b32_e64 v23, v1, v23, s[22:23]
	v_add_u32_e32 v33, 1, v22
	v_add_u32_e32 v22, -1, v23
	v_min_u32_e32 v22, v33, v22
	v_lshlrev_b32_e32 v22, 3, v22
	ds_read_b64 v[34:35], v22
	v_cndmask_b32_e64 v36, v33, v31, s[22:23]
	v_cmp_lt_u32_e32 vcc, v36, v1
	s_mov_b64 s[24:25], -1
	s_mov_b64 s[26:27], -1
	s_waitcnt lgkmcnt(0)
	v_cndmask_b32_e64 v22, v34, v20, s[22:23]
	v_cndmask_b32_e64 v23, v35, v21, s[22:23]
	;; [unrolled: 1-line block ×5, first 2 shown]
	s_and_saveexec_b64 s[28:29], vcc
	s_cbranch_execz .LBB61_78
; %bb.73:
	v_cmp_gt_u32_e32 vcc, s5, v35
	v_cmp_nlt_f32_e64 s[0:1], v22, v29
	s_and_b64 s[30:31], vcc, s[0:1]
	s_mov_b64 s[26:27], 0
	s_and_saveexec_b64 s[0:1], s[30:31]
	s_cbranch_execz .LBB61_77
; %bb.74:
	v_cmp_nlt_f32_e32 vcc, v29, v22
	s_mov_b64 s[26:27], -1
	s_and_saveexec_b64 s[30:31], vcc
; %bb.75:
	v_cmp_nlt_f32_e32 vcc, v23, v30
	s_orn2_b64 s[26:27], vcc, exec
; %bb.76:
	s_or_b64 exec, exec, s[30:31]
	s_and_b64 s[26:27], s[26:27], exec
.LBB61_77:
	s_or_b64 exec, exec, s[0:1]
	s_orn2_b64 s[26:27], s[26:27], exec
.LBB61_78:
	s_or_b64 exec, exec, s[28:29]
	v_mov_b32_e32 v32, s5
	v_cndmask_b32_e64 v31, v36, v35, s[26:27]
	v_cndmask_b32_e64 v32, v1, v32, s[26:27]
	v_add_u32_e32 v37, 1, v31
	v_add_u32_e32 v31, -1, v32
	v_min_u32_e32 v31, v37, v31
	v_lshlrev_b32_e32 v31, 3, v31
	ds_read_b64 v[38:39], v31
	v_cndmask_b32_e64 v36, v37, v36, s[26:27]
	v_cmp_lt_u32_e32 vcc, v36, v1
	s_waitcnt lgkmcnt(0)
	v_cndmask_b32_e64 v31, v38, v22, s[26:27]
	v_cndmask_b32_e64 v32, v39, v23, s[26:27]
	;; [unrolled: 1-line block ×4, first 2 shown]
	s_and_saveexec_b64 s[28:29], vcc
	s_cbranch_execz .LBB61_84
; %bb.79:
	v_cndmask_b32_e64 v1, v35, v37, s[26:27]
	v_cmp_gt_u32_e32 vcc, s5, v1
	v_cmp_nlt_f32_e64 s[0:1], v31, v33
	s_and_b64 s[30:31], vcc, s[0:1]
	s_mov_b64 s[24:25], 0
	s_and_saveexec_b64 s[0:1], s[30:31]
	s_cbranch_execz .LBB61_83
; %bb.80:
	v_cmp_nlt_f32_e32 vcc, v33, v31
	s_mov_b64 s[24:25], -1
	s_and_saveexec_b64 s[30:31], vcc
; %bb.81:
	v_cmp_nlt_f32_e32 vcc, v32, v34
	s_orn2_b64 s[24:25], vcc, exec
; %bb.82:
	s_or_b64 exec, exec, s[30:31]
	s_and_b64 s[24:25], s[24:25], exec
.LBB61_83:
	s_or_b64 exec, exec, s[0:1]
	s_orn2_b64 s[24:25], s[24:25], exec
.LBB61_84:
	s_or_b64 exec, exec, s[28:29]
	v_cndmask_b32_e64 v23, v23, v30, s[26:27]
	v_cndmask_b32_e64 v22, v22, v29, s[26:27]
	;; [unrolled: 1-line block ×16, first 2 shown]
.LBB61_85:
	s_or_b64 exec, exec, s[2:3]
	v_lshrrev_b32_e32 v1, 2, v0
	v_lshlrev_b32_e32 v8, 3, v14
	v_lshl_add_u32 v8, v1, 3, v8
	s_barrier
	s_barrier
	ds_write2_b64 v8, v[2:3], v[16:17] offset1:1
	ds_write2_b64 v8, v[6:7], v[18:19] offset0:2 offset1:3
	ds_write2_b64 v8, v[10:11], v[20:21] offset0:4 offset1:5
	;; [unrolled: 1-line block ×3, first 2 shown]
	v_and_b32_e32 v1, 24, v1
	v_or_b32_e32 v22, 0x80, v0
	v_add_u32_e32 v23, v14, v1
	v_lshrrev_b32_e32 v1, 2, v22
	v_and_b32_e32 v1, 56, v1
	v_or_b32_e32 v21, 0x100, v0
	v_add_u32_e32 v2, v14, v1
	v_lshrrev_b32_e32 v1, 2, v21
	;; [unrolled: 4-line block ×3, first 2 shown]
	v_and_b32_e32 v1, 0x78, v1
	v_add_u32_e32 v4, v14, v1
	v_or_b32_e32 v1, 0x200, v0
	s_lshl_b64 s[0:1], s[16:17], 3
	v_lshrrev_b32_e32 v5, 2, v1
	s_add_u32 s0, s10, s0
	v_and_b32_e32 v5, 0x98, v5
	v_mov_b32_e32 v15, 0
	s_addc_u32 s1, s11, s1
	v_add_u32_e32 v5, v14, v5
	s_mov_b64 s[2:3], -1
	s_and_b64 vcc, exec, s[6:7]
	s_waitcnt lgkmcnt(0)
	s_cbranch_vccz .LBB61_87
; %bb.86:
	v_or_b32_e32 v6, 0x280, v0
	v_lshrrev_b32_e32 v6, 2, v6
	v_and_b32_e32 v6, 0xb8, v6
	v_add_u32_e32 v18, v14, v6
	v_or_b32_e32 v6, 0x300, v0
	v_lshrrev_b32_e32 v6, 2, v6
	v_and_b32_e32 v6, 0xd8, v6
	v_add_u32_e32 v19, v14, v6
	v_or_b32_e32 v6, 0x380, v0
	v_lshrrev_b32_e32 v6, 2, v6
	v_and_b32_e32 v6, 0xf8, v6
	s_barrier
	v_add_u32_e32 v24, v14, v6
	ds_read_b64 v[6:7], v23
	ds_read_b64 v[8:9], v2 offset:1024
	ds_read_b64 v[10:11], v3 offset:2048
	;; [unrolled: 1-line block ×3, first 2 shown]
	s_waitcnt lgkmcnt(3)
	global_store_dwordx2 v14, v[6:7], s[0:1]
	s_waitcnt lgkmcnt(2)
	global_store_dwordx2 v14, v[8:9], s[0:1] offset:1024
	s_waitcnt lgkmcnt(1)
	global_store_dwordx2 v14, v[10:11], s[0:1] offset:2048
	;; [unrolled: 2-line block ×3, first 2 shown]
	ds_read_b64 v[8:9], v5 offset:4096
	ds_read_b64 v[10:11], v18 offset:5120
	;; [unrolled: 1-line block ×4, first 2 shown]
	v_lshl_add_u64 v[16:17], s[0:1], 0, v[14:15]
	v_add_co_u32_e32 v6, vcc, 0x1000, v16
	s_mov_b64 s[2:3], 0
	s_nop 0
	v_addc_co_u32_e32 v7, vcc, 0, v17, vcc
	s_waitcnt lgkmcnt(3)
	global_store_dwordx2 v[6:7], v[8:9], off
	s_waitcnt lgkmcnt(2)
	global_store_dwordx2 v[6:7], v[10:11], off offset:1024
	s_waitcnt lgkmcnt(1)
	global_store_dwordx2 v[6:7], v[12:13], off offset:2048
	;; [unrolled: 2-line block ×3, first 2 shown]
.LBB61_87:
	s_andn2_b64 vcc, exec, s[2:3]
	s_cbranch_vccnz .LBB61_97
; %bb.88:
	v_or_b32_e32 v26, 0x280, v0
	v_or_b32_e32 v25, 0x300, v0
	s_barrier
	ds_read_b64 v[18:19], v2 offset:1024
	ds_read_b64 v[16:17], v3 offset:2048
	;; [unrolled: 1-line block ×4, first 2 shown]
	v_lshrrev_b32_e32 v2, 2, v26
	v_lshrrev_b32_e32 v3, 2, v25
	v_or_b32_e32 v24, 0x380, v0
	v_and_b32_e32 v2, 0xb8, v2
	v_and_b32_e32 v3, 0xd8, v3
	v_lshrrev_b32_e32 v4, 2, v24
	v_add_u32_e32 v2, v14, v2
	v_add_u32_e32 v3, v14, v3
	v_and_b32_e32 v4, 0xf8, v4
	v_add_u32_e32 v4, v14, v4
	ds_read_b64 v[8:9], v2 offset:5120
	ds_read_b64 v[6:7], v3 offset:6144
	;; [unrolled: 1-line block ×3, first 2 shown]
	s_sub_i32 s2, s4, s16
	v_mov_b32_e32 v15, 0
	v_lshl_add_u64 v[4:5], s[0:1], 0, v[14:15]
	v_cmp_gt_u32_e32 vcc, s2, v0
	s_and_saveexec_b64 s[0:1], vcc
	s_cbranch_execnz .LBB61_98
; %bb.89:
	s_or_b64 exec, exec, s[0:1]
	v_cmp_gt_u32_e32 vcc, s2, v22
	s_and_saveexec_b64 s[0:1], vcc
	s_cbranch_execnz .LBB61_99
.LBB61_90:
	s_or_b64 exec, exec, s[0:1]
	v_cmp_gt_u32_e32 vcc, s2, v21
	s_and_saveexec_b64 s[0:1], vcc
	s_cbranch_execnz .LBB61_100
.LBB61_91:
	s_or_b64 exec, exec, s[0:1]
	v_cmp_gt_u32_e32 vcc, s2, v20
	s_and_saveexec_b64 s[0:1], vcc
	s_cbranch_execnz .LBB61_101
.LBB61_92:
	s_or_b64 exec, exec, s[0:1]
	v_cmp_gt_u32_e32 vcc, s2, v1
	s_and_saveexec_b64 s[0:1], vcc
	s_cbranch_execnz .LBB61_102
.LBB61_93:
	s_or_b64 exec, exec, s[0:1]
	v_cmp_gt_u32_e32 vcc, s2, v26
	s_and_saveexec_b64 s[0:1], vcc
	s_cbranch_execnz .LBB61_103
.LBB61_94:
	s_or_b64 exec, exec, s[0:1]
	v_cmp_gt_u32_e32 vcc, s2, v25
	s_and_saveexec_b64 s[0:1], vcc
	s_cbranch_execnz .LBB61_104
.LBB61_95:
	s_or_b64 exec, exec, s[0:1]
	v_cmp_gt_u32_e32 vcc, s2, v24
	s_and_saveexec_b64 s[0:1], vcc
	s_cbranch_execz .LBB61_97
.LBB61_96:
	v_add_co_u32_e32 v0, vcc, 0x1000, v4
	s_nop 1
	v_addc_co_u32_e32 v1, vcc, 0, v5, vcc
	s_waitcnt lgkmcnt(0)
	global_store_dwordx2 v[0:1], v[2:3], off offset:3072
.LBB61_97:
	s_endpgm
.LBB61_98:
	ds_read_b64 v[14:15], v23
	s_waitcnt lgkmcnt(0)
	global_store_dwordx2 v[4:5], v[14:15], off
	s_or_b64 exec, exec, s[0:1]
	v_cmp_gt_u32_e32 vcc, s2, v22
	s_and_saveexec_b64 s[0:1], vcc
	s_cbranch_execz .LBB61_90
.LBB61_99:
	s_waitcnt lgkmcnt(6)
	global_store_dwordx2 v[4:5], v[18:19], off offset:1024
	s_or_b64 exec, exec, s[0:1]
	v_cmp_gt_u32_e32 vcc, s2, v21
	s_and_saveexec_b64 s[0:1], vcc
	s_cbranch_execz .LBB61_91
.LBB61_100:
	s_waitcnt lgkmcnt(5)
	global_store_dwordx2 v[4:5], v[16:17], off offset:2048
	s_or_b64 exec, exec, s[0:1]
	v_cmp_gt_u32_e32 vcc, s2, v20
	s_and_saveexec_b64 s[0:1], vcc
	s_cbranch_execz .LBB61_92
.LBB61_101:
	s_waitcnt lgkmcnt(4)
	global_store_dwordx2 v[4:5], v[12:13], off offset:3072
	s_or_b64 exec, exec, s[0:1]
	v_cmp_gt_u32_e32 vcc, s2, v1
	s_and_saveexec_b64 s[0:1], vcc
	s_cbranch_execz .LBB61_93
.LBB61_102:
	v_add_co_u32_e32 v0, vcc, 0x1000, v4
	s_nop 1
	v_addc_co_u32_e32 v1, vcc, 0, v5, vcc
	s_waitcnt lgkmcnt(3)
	global_store_dwordx2 v[0:1], v[10:11], off
	s_or_b64 exec, exec, s[0:1]
	v_cmp_gt_u32_e32 vcc, s2, v26
	s_and_saveexec_b64 s[0:1], vcc
	s_cbranch_execz .LBB61_94
.LBB61_103:
	v_add_co_u32_e32 v0, vcc, 0x1000, v4
	s_nop 1
	v_addc_co_u32_e32 v1, vcc, 0, v5, vcc
	s_waitcnt lgkmcnt(2)
	global_store_dwordx2 v[0:1], v[8:9], off offset:1024
	s_or_b64 exec, exec, s[0:1]
	v_cmp_gt_u32_e32 vcc, s2, v25
	s_and_saveexec_b64 s[0:1], vcc
	s_cbranch_execz .LBB61_95
.LBB61_104:
	v_add_co_u32_e32 v0, vcc, 0x1000, v4
	s_nop 1
	v_addc_co_u32_e32 v1, vcc, 0, v5, vcc
	s_waitcnt lgkmcnt(1)
	global_store_dwordx2 v[0:1], v[6:7], off offset:2048
	s_or_b64 exec, exec, s[0:1]
	v_cmp_gt_u32_e32 vcc, s2, v24
	s_and_saveexec_b64 s[0:1], vcc
	s_cbranch_execnz .LBB61_96
	s_branch .LBB61_97
	.section	.rodata,"a",@progbits
	.p2align	6, 0x0
	.amdhsa_kernel _ZN7rocprim17ROCPRIM_400000_NS6detail17trampoline_kernelINS0_14default_configENS1_38merge_sort_block_merge_config_selectorIN6thrust23THRUST_200600_302600_NS5tupleIffNS6_9null_typeES8_S8_S8_S8_S8_S8_S8_EENS0_10empty_typeEEEZZNS1_27merge_sort_block_merge_implIS3_NS6_6detail15normal_iteratorINS6_10device_ptrIS9_EEEEPSA_mNS6_4lessIS9_EEEE10hipError_tT0_T1_T2_jT3_P12ihipStream_tbPNSt15iterator_traitsISM_E10value_typeEPNSS_ISN_E10value_typeEPSO_NS1_7vsmem_tEENKUlT_SM_SN_SO_E_clISH_PS9_SI_SI_EESL_S11_SM_SN_SO_EUlS11_E0_NS1_11comp_targetILNS1_3genE5ELNS1_11target_archE942ELNS1_3gpuE9ELNS1_3repE0EEENS1_38merge_mergepath_config_static_selectorELNS0_4arch9wavefront6targetE1EEEvSN_
		.amdhsa_group_segment_fixed_size 8448
		.amdhsa_private_segment_fixed_size 0
		.amdhsa_kernarg_size 328
		.amdhsa_user_sgpr_count 2
		.amdhsa_user_sgpr_dispatch_ptr 0
		.amdhsa_user_sgpr_queue_ptr 0
		.amdhsa_user_sgpr_kernarg_segment_ptr 1
		.amdhsa_user_sgpr_dispatch_id 0
		.amdhsa_user_sgpr_kernarg_preload_length 0
		.amdhsa_user_sgpr_kernarg_preload_offset 0
		.amdhsa_user_sgpr_private_segment_size 0
		.amdhsa_uses_dynamic_stack 0
		.amdhsa_enable_private_segment 0
		.amdhsa_system_sgpr_workgroup_id_x 1
		.amdhsa_system_sgpr_workgroup_id_y 1
		.amdhsa_system_sgpr_workgroup_id_z 1
		.amdhsa_system_sgpr_workgroup_info 0
		.amdhsa_system_vgpr_workitem_id 0
		.amdhsa_next_free_vgpr 40
		.amdhsa_next_free_sgpr 32
		.amdhsa_accum_offset 40
		.amdhsa_reserve_vcc 1
		.amdhsa_float_round_mode_32 0
		.amdhsa_float_round_mode_16_64 0
		.amdhsa_float_denorm_mode_32 3
		.amdhsa_float_denorm_mode_16_64 3
		.amdhsa_dx10_clamp 1
		.amdhsa_ieee_mode 1
		.amdhsa_fp16_overflow 0
		.amdhsa_tg_split 0
		.amdhsa_exception_fp_ieee_invalid_op 0
		.amdhsa_exception_fp_denorm_src 0
		.amdhsa_exception_fp_ieee_div_zero 0
		.amdhsa_exception_fp_ieee_overflow 0
		.amdhsa_exception_fp_ieee_underflow 0
		.amdhsa_exception_fp_ieee_inexact 0
		.amdhsa_exception_int_div_zero 0
	.end_amdhsa_kernel
	.section	.text._ZN7rocprim17ROCPRIM_400000_NS6detail17trampoline_kernelINS0_14default_configENS1_38merge_sort_block_merge_config_selectorIN6thrust23THRUST_200600_302600_NS5tupleIffNS6_9null_typeES8_S8_S8_S8_S8_S8_S8_EENS0_10empty_typeEEEZZNS1_27merge_sort_block_merge_implIS3_NS6_6detail15normal_iteratorINS6_10device_ptrIS9_EEEEPSA_mNS6_4lessIS9_EEEE10hipError_tT0_T1_T2_jT3_P12ihipStream_tbPNSt15iterator_traitsISM_E10value_typeEPNSS_ISN_E10value_typeEPSO_NS1_7vsmem_tEENKUlT_SM_SN_SO_E_clISH_PS9_SI_SI_EESL_S11_SM_SN_SO_EUlS11_E0_NS1_11comp_targetILNS1_3genE5ELNS1_11target_archE942ELNS1_3gpuE9ELNS1_3repE0EEENS1_38merge_mergepath_config_static_selectorELNS0_4arch9wavefront6targetE1EEEvSN_,"axG",@progbits,_ZN7rocprim17ROCPRIM_400000_NS6detail17trampoline_kernelINS0_14default_configENS1_38merge_sort_block_merge_config_selectorIN6thrust23THRUST_200600_302600_NS5tupleIffNS6_9null_typeES8_S8_S8_S8_S8_S8_S8_EENS0_10empty_typeEEEZZNS1_27merge_sort_block_merge_implIS3_NS6_6detail15normal_iteratorINS6_10device_ptrIS9_EEEEPSA_mNS6_4lessIS9_EEEE10hipError_tT0_T1_T2_jT3_P12ihipStream_tbPNSt15iterator_traitsISM_E10value_typeEPNSS_ISN_E10value_typeEPSO_NS1_7vsmem_tEENKUlT_SM_SN_SO_E_clISH_PS9_SI_SI_EESL_S11_SM_SN_SO_EUlS11_E0_NS1_11comp_targetILNS1_3genE5ELNS1_11target_archE942ELNS1_3gpuE9ELNS1_3repE0EEENS1_38merge_mergepath_config_static_selectorELNS0_4arch9wavefront6targetE1EEEvSN_,comdat
.Lfunc_end61:
	.size	_ZN7rocprim17ROCPRIM_400000_NS6detail17trampoline_kernelINS0_14default_configENS1_38merge_sort_block_merge_config_selectorIN6thrust23THRUST_200600_302600_NS5tupleIffNS6_9null_typeES8_S8_S8_S8_S8_S8_S8_EENS0_10empty_typeEEEZZNS1_27merge_sort_block_merge_implIS3_NS6_6detail15normal_iteratorINS6_10device_ptrIS9_EEEEPSA_mNS6_4lessIS9_EEEE10hipError_tT0_T1_T2_jT3_P12ihipStream_tbPNSt15iterator_traitsISM_E10value_typeEPNSS_ISN_E10value_typeEPSO_NS1_7vsmem_tEENKUlT_SM_SN_SO_E_clISH_PS9_SI_SI_EESL_S11_SM_SN_SO_EUlS11_E0_NS1_11comp_targetILNS1_3genE5ELNS1_11target_archE942ELNS1_3gpuE9ELNS1_3repE0EEENS1_38merge_mergepath_config_static_selectorELNS0_4arch9wavefront6targetE1EEEvSN_, .Lfunc_end61-_ZN7rocprim17ROCPRIM_400000_NS6detail17trampoline_kernelINS0_14default_configENS1_38merge_sort_block_merge_config_selectorIN6thrust23THRUST_200600_302600_NS5tupleIffNS6_9null_typeES8_S8_S8_S8_S8_S8_S8_EENS0_10empty_typeEEEZZNS1_27merge_sort_block_merge_implIS3_NS6_6detail15normal_iteratorINS6_10device_ptrIS9_EEEEPSA_mNS6_4lessIS9_EEEE10hipError_tT0_T1_T2_jT3_P12ihipStream_tbPNSt15iterator_traitsISM_E10value_typeEPNSS_ISN_E10value_typeEPSO_NS1_7vsmem_tEENKUlT_SM_SN_SO_E_clISH_PS9_SI_SI_EESL_S11_SM_SN_SO_EUlS11_E0_NS1_11comp_targetILNS1_3genE5ELNS1_11target_archE942ELNS1_3gpuE9ELNS1_3repE0EEENS1_38merge_mergepath_config_static_selectorELNS0_4arch9wavefront6targetE1EEEvSN_
                                        ; -- End function
	.section	.AMDGPU.csdata,"",@progbits
; Kernel info:
; codeLenInByte = 4352
; NumSgprs: 38
; NumVgprs: 40
; NumAgprs: 0
; TotalNumVgprs: 40
; ScratchSize: 0
; MemoryBound: 0
; FloatMode: 240
; IeeeMode: 1
; LDSByteSize: 8448 bytes/workgroup (compile time only)
; SGPRBlocks: 4
; VGPRBlocks: 4
; NumSGPRsForWavesPerEU: 38
; NumVGPRsForWavesPerEU: 40
; AccumOffset: 40
; Occupancy: 4
; WaveLimiterHint : 1
; COMPUTE_PGM_RSRC2:SCRATCH_EN: 0
; COMPUTE_PGM_RSRC2:USER_SGPR: 2
; COMPUTE_PGM_RSRC2:TRAP_HANDLER: 0
; COMPUTE_PGM_RSRC2:TGID_X_EN: 1
; COMPUTE_PGM_RSRC2:TGID_Y_EN: 1
; COMPUTE_PGM_RSRC2:TGID_Z_EN: 1
; COMPUTE_PGM_RSRC2:TIDIG_COMP_CNT: 0
; COMPUTE_PGM_RSRC3_GFX90A:ACCUM_OFFSET: 9
; COMPUTE_PGM_RSRC3_GFX90A:TG_SPLIT: 0
	.section	.text._ZN7rocprim17ROCPRIM_400000_NS6detail17trampoline_kernelINS0_14default_configENS1_38merge_sort_block_merge_config_selectorIN6thrust23THRUST_200600_302600_NS5tupleIffNS6_9null_typeES8_S8_S8_S8_S8_S8_S8_EENS0_10empty_typeEEEZZNS1_27merge_sort_block_merge_implIS3_NS6_6detail15normal_iteratorINS6_10device_ptrIS9_EEEEPSA_mNS6_4lessIS9_EEEE10hipError_tT0_T1_T2_jT3_P12ihipStream_tbPNSt15iterator_traitsISM_E10value_typeEPNSS_ISN_E10value_typeEPSO_NS1_7vsmem_tEENKUlT_SM_SN_SO_E_clISH_PS9_SI_SI_EESL_S11_SM_SN_SO_EUlS11_E0_NS1_11comp_targetILNS1_3genE4ELNS1_11target_archE910ELNS1_3gpuE8ELNS1_3repE0EEENS1_38merge_mergepath_config_static_selectorELNS0_4arch9wavefront6targetE1EEEvSN_,"axG",@progbits,_ZN7rocprim17ROCPRIM_400000_NS6detail17trampoline_kernelINS0_14default_configENS1_38merge_sort_block_merge_config_selectorIN6thrust23THRUST_200600_302600_NS5tupleIffNS6_9null_typeES8_S8_S8_S8_S8_S8_S8_EENS0_10empty_typeEEEZZNS1_27merge_sort_block_merge_implIS3_NS6_6detail15normal_iteratorINS6_10device_ptrIS9_EEEEPSA_mNS6_4lessIS9_EEEE10hipError_tT0_T1_T2_jT3_P12ihipStream_tbPNSt15iterator_traitsISM_E10value_typeEPNSS_ISN_E10value_typeEPSO_NS1_7vsmem_tEENKUlT_SM_SN_SO_E_clISH_PS9_SI_SI_EESL_S11_SM_SN_SO_EUlS11_E0_NS1_11comp_targetILNS1_3genE4ELNS1_11target_archE910ELNS1_3gpuE8ELNS1_3repE0EEENS1_38merge_mergepath_config_static_selectorELNS0_4arch9wavefront6targetE1EEEvSN_,comdat
	.protected	_ZN7rocprim17ROCPRIM_400000_NS6detail17trampoline_kernelINS0_14default_configENS1_38merge_sort_block_merge_config_selectorIN6thrust23THRUST_200600_302600_NS5tupleIffNS6_9null_typeES8_S8_S8_S8_S8_S8_S8_EENS0_10empty_typeEEEZZNS1_27merge_sort_block_merge_implIS3_NS6_6detail15normal_iteratorINS6_10device_ptrIS9_EEEEPSA_mNS6_4lessIS9_EEEE10hipError_tT0_T1_T2_jT3_P12ihipStream_tbPNSt15iterator_traitsISM_E10value_typeEPNSS_ISN_E10value_typeEPSO_NS1_7vsmem_tEENKUlT_SM_SN_SO_E_clISH_PS9_SI_SI_EESL_S11_SM_SN_SO_EUlS11_E0_NS1_11comp_targetILNS1_3genE4ELNS1_11target_archE910ELNS1_3gpuE8ELNS1_3repE0EEENS1_38merge_mergepath_config_static_selectorELNS0_4arch9wavefront6targetE1EEEvSN_ ; -- Begin function _ZN7rocprim17ROCPRIM_400000_NS6detail17trampoline_kernelINS0_14default_configENS1_38merge_sort_block_merge_config_selectorIN6thrust23THRUST_200600_302600_NS5tupleIffNS6_9null_typeES8_S8_S8_S8_S8_S8_S8_EENS0_10empty_typeEEEZZNS1_27merge_sort_block_merge_implIS3_NS6_6detail15normal_iteratorINS6_10device_ptrIS9_EEEEPSA_mNS6_4lessIS9_EEEE10hipError_tT0_T1_T2_jT3_P12ihipStream_tbPNSt15iterator_traitsISM_E10value_typeEPNSS_ISN_E10value_typeEPSO_NS1_7vsmem_tEENKUlT_SM_SN_SO_E_clISH_PS9_SI_SI_EESL_S11_SM_SN_SO_EUlS11_E0_NS1_11comp_targetILNS1_3genE4ELNS1_11target_archE910ELNS1_3gpuE8ELNS1_3repE0EEENS1_38merge_mergepath_config_static_selectorELNS0_4arch9wavefront6targetE1EEEvSN_
	.globl	_ZN7rocprim17ROCPRIM_400000_NS6detail17trampoline_kernelINS0_14default_configENS1_38merge_sort_block_merge_config_selectorIN6thrust23THRUST_200600_302600_NS5tupleIffNS6_9null_typeES8_S8_S8_S8_S8_S8_S8_EENS0_10empty_typeEEEZZNS1_27merge_sort_block_merge_implIS3_NS6_6detail15normal_iteratorINS6_10device_ptrIS9_EEEEPSA_mNS6_4lessIS9_EEEE10hipError_tT0_T1_T2_jT3_P12ihipStream_tbPNSt15iterator_traitsISM_E10value_typeEPNSS_ISN_E10value_typeEPSO_NS1_7vsmem_tEENKUlT_SM_SN_SO_E_clISH_PS9_SI_SI_EESL_S11_SM_SN_SO_EUlS11_E0_NS1_11comp_targetILNS1_3genE4ELNS1_11target_archE910ELNS1_3gpuE8ELNS1_3repE0EEENS1_38merge_mergepath_config_static_selectorELNS0_4arch9wavefront6targetE1EEEvSN_
	.p2align	8
	.type	_ZN7rocprim17ROCPRIM_400000_NS6detail17trampoline_kernelINS0_14default_configENS1_38merge_sort_block_merge_config_selectorIN6thrust23THRUST_200600_302600_NS5tupleIffNS6_9null_typeES8_S8_S8_S8_S8_S8_S8_EENS0_10empty_typeEEEZZNS1_27merge_sort_block_merge_implIS3_NS6_6detail15normal_iteratorINS6_10device_ptrIS9_EEEEPSA_mNS6_4lessIS9_EEEE10hipError_tT0_T1_T2_jT3_P12ihipStream_tbPNSt15iterator_traitsISM_E10value_typeEPNSS_ISN_E10value_typeEPSO_NS1_7vsmem_tEENKUlT_SM_SN_SO_E_clISH_PS9_SI_SI_EESL_S11_SM_SN_SO_EUlS11_E0_NS1_11comp_targetILNS1_3genE4ELNS1_11target_archE910ELNS1_3gpuE8ELNS1_3repE0EEENS1_38merge_mergepath_config_static_selectorELNS0_4arch9wavefront6targetE1EEEvSN_,@function
_ZN7rocprim17ROCPRIM_400000_NS6detail17trampoline_kernelINS0_14default_configENS1_38merge_sort_block_merge_config_selectorIN6thrust23THRUST_200600_302600_NS5tupleIffNS6_9null_typeES8_S8_S8_S8_S8_S8_S8_EENS0_10empty_typeEEEZZNS1_27merge_sort_block_merge_implIS3_NS6_6detail15normal_iteratorINS6_10device_ptrIS9_EEEEPSA_mNS6_4lessIS9_EEEE10hipError_tT0_T1_T2_jT3_P12ihipStream_tbPNSt15iterator_traitsISM_E10value_typeEPNSS_ISN_E10value_typeEPSO_NS1_7vsmem_tEENKUlT_SM_SN_SO_E_clISH_PS9_SI_SI_EESL_S11_SM_SN_SO_EUlS11_E0_NS1_11comp_targetILNS1_3genE4ELNS1_11target_archE910ELNS1_3gpuE8ELNS1_3repE0EEENS1_38merge_mergepath_config_static_selectorELNS0_4arch9wavefront6targetE1EEEvSN_: ; @_ZN7rocprim17ROCPRIM_400000_NS6detail17trampoline_kernelINS0_14default_configENS1_38merge_sort_block_merge_config_selectorIN6thrust23THRUST_200600_302600_NS5tupleIffNS6_9null_typeES8_S8_S8_S8_S8_S8_S8_EENS0_10empty_typeEEEZZNS1_27merge_sort_block_merge_implIS3_NS6_6detail15normal_iteratorINS6_10device_ptrIS9_EEEEPSA_mNS6_4lessIS9_EEEE10hipError_tT0_T1_T2_jT3_P12ihipStream_tbPNSt15iterator_traitsISM_E10value_typeEPNSS_ISN_E10value_typeEPSO_NS1_7vsmem_tEENKUlT_SM_SN_SO_E_clISH_PS9_SI_SI_EESL_S11_SM_SN_SO_EUlS11_E0_NS1_11comp_targetILNS1_3genE4ELNS1_11target_archE910ELNS1_3gpuE8ELNS1_3repE0EEENS1_38merge_mergepath_config_static_selectorELNS0_4arch9wavefront6targetE1EEEvSN_
; %bb.0:
	.section	.rodata,"a",@progbits
	.p2align	6, 0x0
	.amdhsa_kernel _ZN7rocprim17ROCPRIM_400000_NS6detail17trampoline_kernelINS0_14default_configENS1_38merge_sort_block_merge_config_selectorIN6thrust23THRUST_200600_302600_NS5tupleIffNS6_9null_typeES8_S8_S8_S8_S8_S8_S8_EENS0_10empty_typeEEEZZNS1_27merge_sort_block_merge_implIS3_NS6_6detail15normal_iteratorINS6_10device_ptrIS9_EEEEPSA_mNS6_4lessIS9_EEEE10hipError_tT0_T1_T2_jT3_P12ihipStream_tbPNSt15iterator_traitsISM_E10value_typeEPNSS_ISN_E10value_typeEPSO_NS1_7vsmem_tEENKUlT_SM_SN_SO_E_clISH_PS9_SI_SI_EESL_S11_SM_SN_SO_EUlS11_E0_NS1_11comp_targetILNS1_3genE4ELNS1_11target_archE910ELNS1_3gpuE8ELNS1_3repE0EEENS1_38merge_mergepath_config_static_selectorELNS0_4arch9wavefront6targetE1EEEvSN_
		.amdhsa_group_segment_fixed_size 0
		.amdhsa_private_segment_fixed_size 0
		.amdhsa_kernarg_size 72
		.amdhsa_user_sgpr_count 2
		.amdhsa_user_sgpr_dispatch_ptr 0
		.amdhsa_user_sgpr_queue_ptr 0
		.amdhsa_user_sgpr_kernarg_segment_ptr 1
		.amdhsa_user_sgpr_dispatch_id 0
		.amdhsa_user_sgpr_kernarg_preload_length 0
		.amdhsa_user_sgpr_kernarg_preload_offset 0
		.amdhsa_user_sgpr_private_segment_size 0
		.amdhsa_uses_dynamic_stack 0
		.amdhsa_enable_private_segment 0
		.amdhsa_system_sgpr_workgroup_id_x 1
		.amdhsa_system_sgpr_workgroup_id_y 0
		.amdhsa_system_sgpr_workgroup_id_z 0
		.amdhsa_system_sgpr_workgroup_info 0
		.amdhsa_system_vgpr_workitem_id 0
		.amdhsa_next_free_vgpr 1
		.amdhsa_next_free_sgpr 0
		.amdhsa_accum_offset 4
		.amdhsa_reserve_vcc 0
		.amdhsa_float_round_mode_32 0
		.amdhsa_float_round_mode_16_64 0
		.amdhsa_float_denorm_mode_32 3
		.amdhsa_float_denorm_mode_16_64 3
		.amdhsa_dx10_clamp 1
		.amdhsa_ieee_mode 1
		.amdhsa_fp16_overflow 0
		.amdhsa_tg_split 0
		.amdhsa_exception_fp_ieee_invalid_op 0
		.amdhsa_exception_fp_denorm_src 0
		.amdhsa_exception_fp_ieee_div_zero 0
		.amdhsa_exception_fp_ieee_overflow 0
		.amdhsa_exception_fp_ieee_underflow 0
		.amdhsa_exception_fp_ieee_inexact 0
		.amdhsa_exception_int_div_zero 0
	.end_amdhsa_kernel
	.section	.text._ZN7rocprim17ROCPRIM_400000_NS6detail17trampoline_kernelINS0_14default_configENS1_38merge_sort_block_merge_config_selectorIN6thrust23THRUST_200600_302600_NS5tupleIffNS6_9null_typeES8_S8_S8_S8_S8_S8_S8_EENS0_10empty_typeEEEZZNS1_27merge_sort_block_merge_implIS3_NS6_6detail15normal_iteratorINS6_10device_ptrIS9_EEEEPSA_mNS6_4lessIS9_EEEE10hipError_tT0_T1_T2_jT3_P12ihipStream_tbPNSt15iterator_traitsISM_E10value_typeEPNSS_ISN_E10value_typeEPSO_NS1_7vsmem_tEENKUlT_SM_SN_SO_E_clISH_PS9_SI_SI_EESL_S11_SM_SN_SO_EUlS11_E0_NS1_11comp_targetILNS1_3genE4ELNS1_11target_archE910ELNS1_3gpuE8ELNS1_3repE0EEENS1_38merge_mergepath_config_static_selectorELNS0_4arch9wavefront6targetE1EEEvSN_,"axG",@progbits,_ZN7rocprim17ROCPRIM_400000_NS6detail17trampoline_kernelINS0_14default_configENS1_38merge_sort_block_merge_config_selectorIN6thrust23THRUST_200600_302600_NS5tupleIffNS6_9null_typeES8_S8_S8_S8_S8_S8_S8_EENS0_10empty_typeEEEZZNS1_27merge_sort_block_merge_implIS3_NS6_6detail15normal_iteratorINS6_10device_ptrIS9_EEEEPSA_mNS6_4lessIS9_EEEE10hipError_tT0_T1_T2_jT3_P12ihipStream_tbPNSt15iterator_traitsISM_E10value_typeEPNSS_ISN_E10value_typeEPSO_NS1_7vsmem_tEENKUlT_SM_SN_SO_E_clISH_PS9_SI_SI_EESL_S11_SM_SN_SO_EUlS11_E0_NS1_11comp_targetILNS1_3genE4ELNS1_11target_archE910ELNS1_3gpuE8ELNS1_3repE0EEENS1_38merge_mergepath_config_static_selectorELNS0_4arch9wavefront6targetE1EEEvSN_,comdat
.Lfunc_end62:
	.size	_ZN7rocprim17ROCPRIM_400000_NS6detail17trampoline_kernelINS0_14default_configENS1_38merge_sort_block_merge_config_selectorIN6thrust23THRUST_200600_302600_NS5tupleIffNS6_9null_typeES8_S8_S8_S8_S8_S8_S8_EENS0_10empty_typeEEEZZNS1_27merge_sort_block_merge_implIS3_NS6_6detail15normal_iteratorINS6_10device_ptrIS9_EEEEPSA_mNS6_4lessIS9_EEEE10hipError_tT0_T1_T2_jT3_P12ihipStream_tbPNSt15iterator_traitsISM_E10value_typeEPNSS_ISN_E10value_typeEPSO_NS1_7vsmem_tEENKUlT_SM_SN_SO_E_clISH_PS9_SI_SI_EESL_S11_SM_SN_SO_EUlS11_E0_NS1_11comp_targetILNS1_3genE4ELNS1_11target_archE910ELNS1_3gpuE8ELNS1_3repE0EEENS1_38merge_mergepath_config_static_selectorELNS0_4arch9wavefront6targetE1EEEvSN_, .Lfunc_end62-_ZN7rocprim17ROCPRIM_400000_NS6detail17trampoline_kernelINS0_14default_configENS1_38merge_sort_block_merge_config_selectorIN6thrust23THRUST_200600_302600_NS5tupleIffNS6_9null_typeES8_S8_S8_S8_S8_S8_S8_EENS0_10empty_typeEEEZZNS1_27merge_sort_block_merge_implIS3_NS6_6detail15normal_iteratorINS6_10device_ptrIS9_EEEEPSA_mNS6_4lessIS9_EEEE10hipError_tT0_T1_T2_jT3_P12ihipStream_tbPNSt15iterator_traitsISM_E10value_typeEPNSS_ISN_E10value_typeEPSO_NS1_7vsmem_tEENKUlT_SM_SN_SO_E_clISH_PS9_SI_SI_EESL_S11_SM_SN_SO_EUlS11_E0_NS1_11comp_targetILNS1_3genE4ELNS1_11target_archE910ELNS1_3gpuE8ELNS1_3repE0EEENS1_38merge_mergepath_config_static_selectorELNS0_4arch9wavefront6targetE1EEEvSN_
                                        ; -- End function
	.section	.AMDGPU.csdata,"",@progbits
; Kernel info:
; codeLenInByte = 0
; NumSgprs: 6
; NumVgprs: 0
; NumAgprs: 0
; TotalNumVgprs: 0
; ScratchSize: 0
; MemoryBound: 0
; FloatMode: 240
; IeeeMode: 1
; LDSByteSize: 0 bytes/workgroup (compile time only)
; SGPRBlocks: 0
; VGPRBlocks: 0
; NumSGPRsForWavesPerEU: 6
; NumVGPRsForWavesPerEU: 1
; AccumOffset: 4
; Occupancy: 8
; WaveLimiterHint : 0
; COMPUTE_PGM_RSRC2:SCRATCH_EN: 0
; COMPUTE_PGM_RSRC2:USER_SGPR: 2
; COMPUTE_PGM_RSRC2:TRAP_HANDLER: 0
; COMPUTE_PGM_RSRC2:TGID_X_EN: 1
; COMPUTE_PGM_RSRC2:TGID_Y_EN: 0
; COMPUTE_PGM_RSRC2:TGID_Z_EN: 0
; COMPUTE_PGM_RSRC2:TIDIG_COMP_CNT: 0
; COMPUTE_PGM_RSRC3_GFX90A:ACCUM_OFFSET: 0
; COMPUTE_PGM_RSRC3_GFX90A:TG_SPLIT: 0
	.section	.text._ZN7rocprim17ROCPRIM_400000_NS6detail17trampoline_kernelINS0_14default_configENS1_38merge_sort_block_merge_config_selectorIN6thrust23THRUST_200600_302600_NS5tupleIffNS6_9null_typeES8_S8_S8_S8_S8_S8_S8_EENS0_10empty_typeEEEZZNS1_27merge_sort_block_merge_implIS3_NS6_6detail15normal_iteratorINS6_10device_ptrIS9_EEEEPSA_mNS6_4lessIS9_EEEE10hipError_tT0_T1_T2_jT3_P12ihipStream_tbPNSt15iterator_traitsISM_E10value_typeEPNSS_ISN_E10value_typeEPSO_NS1_7vsmem_tEENKUlT_SM_SN_SO_E_clISH_PS9_SI_SI_EESL_S11_SM_SN_SO_EUlS11_E0_NS1_11comp_targetILNS1_3genE3ELNS1_11target_archE908ELNS1_3gpuE7ELNS1_3repE0EEENS1_38merge_mergepath_config_static_selectorELNS0_4arch9wavefront6targetE1EEEvSN_,"axG",@progbits,_ZN7rocprim17ROCPRIM_400000_NS6detail17trampoline_kernelINS0_14default_configENS1_38merge_sort_block_merge_config_selectorIN6thrust23THRUST_200600_302600_NS5tupleIffNS6_9null_typeES8_S8_S8_S8_S8_S8_S8_EENS0_10empty_typeEEEZZNS1_27merge_sort_block_merge_implIS3_NS6_6detail15normal_iteratorINS6_10device_ptrIS9_EEEEPSA_mNS6_4lessIS9_EEEE10hipError_tT0_T1_T2_jT3_P12ihipStream_tbPNSt15iterator_traitsISM_E10value_typeEPNSS_ISN_E10value_typeEPSO_NS1_7vsmem_tEENKUlT_SM_SN_SO_E_clISH_PS9_SI_SI_EESL_S11_SM_SN_SO_EUlS11_E0_NS1_11comp_targetILNS1_3genE3ELNS1_11target_archE908ELNS1_3gpuE7ELNS1_3repE0EEENS1_38merge_mergepath_config_static_selectorELNS0_4arch9wavefront6targetE1EEEvSN_,comdat
	.protected	_ZN7rocprim17ROCPRIM_400000_NS6detail17trampoline_kernelINS0_14default_configENS1_38merge_sort_block_merge_config_selectorIN6thrust23THRUST_200600_302600_NS5tupleIffNS6_9null_typeES8_S8_S8_S8_S8_S8_S8_EENS0_10empty_typeEEEZZNS1_27merge_sort_block_merge_implIS3_NS6_6detail15normal_iteratorINS6_10device_ptrIS9_EEEEPSA_mNS6_4lessIS9_EEEE10hipError_tT0_T1_T2_jT3_P12ihipStream_tbPNSt15iterator_traitsISM_E10value_typeEPNSS_ISN_E10value_typeEPSO_NS1_7vsmem_tEENKUlT_SM_SN_SO_E_clISH_PS9_SI_SI_EESL_S11_SM_SN_SO_EUlS11_E0_NS1_11comp_targetILNS1_3genE3ELNS1_11target_archE908ELNS1_3gpuE7ELNS1_3repE0EEENS1_38merge_mergepath_config_static_selectorELNS0_4arch9wavefront6targetE1EEEvSN_ ; -- Begin function _ZN7rocprim17ROCPRIM_400000_NS6detail17trampoline_kernelINS0_14default_configENS1_38merge_sort_block_merge_config_selectorIN6thrust23THRUST_200600_302600_NS5tupleIffNS6_9null_typeES8_S8_S8_S8_S8_S8_S8_EENS0_10empty_typeEEEZZNS1_27merge_sort_block_merge_implIS3_NS6_6detail15normal_iteratorINS6_10device_ptrIS9_EEEEPSA_mNS6_4lessIS9_EEEE10hipError_tT0_T1_T2_jT3_P12ihipStream_tbPNSt15iterator_traitsISM_E10value_typeEPNSS_ISN_E10value_typeEPSO_NS1_7vsmem_tEENKUlT_SM_SN_SO_E_clISH_PS9_SI_SI_EESL_S11_SM_SN_SO_EUlS11_E0_NS1_11comp_targetILNS1_3genE3ELNS1_11target_archE908ELNS1_3gpuE7ELNS1_3repE0EEENS1_38merge_mergepath_config_static_selectorELNS0_4arch9wavefront6targetE1EEEvSN_
	.globl	_ZN7rocprim17ROCPRIM_400000_NS6detail17trampoline_kernelINS0_14default_configENS1_38merge_sort_block_merge_config_selectorIN6thrust23THRUST_200600_302600_NS5tupleIffNS6_9null_typeES8_S8_S8_S8_S8_S8_S8_EENS0_10empty_typeEEEZZNS1_27merge_sort_block_merge_implIS3_NS6_6detail15normal_iteratorINS6_10device_ptrIS9_EEEEPSA_mNS6_4lessIS9_EEEE10hipError_tT0_T1_T2_jT3_P12ihipStream_tbPNSt15iterator_traitsISM_E10value_typeEPNSS_ISN_E10value_typeEPSO_NS1_7vsmem_tEENKUlT_SM_SN_SO_E_clISH_PS9_SI_SI_EESL_S11_SM_SN_SO_EUlS11_E0_NS1_11comp_targetILNS1_3genE3ELNS1_11target_archE908ELNS1_3gpuE7ELNS1_3repE0EEENS1_38merge_mergepath_config_static_selectorELNS0_4arch9wavefront6targetE1EEEvSN_
	.p2align	8
	.type	_ZN7rocprim17ROCPRIM_400000_NS6detail17trampoline_kernelINS0_14default_configENS1_38merge_sort_block_merge_config_selectorIN6thrust23THRUST_200600_302600_NS5tupleIffNS6_9null_typeES8_S8_S8_S8_S8_S8_S8_EENS0_10empty_typeEEEZZNS1_27merge_sort_block_merge_implIS3_NS6_6detail15normal_iteratorINS6_10device_ptrIS9_EEEEPSA_mNS6_4lessIS9_EEEE10hipError_tT0_T1_T2_jT3_P12ihipStream_tbPNSt15iterator_traitsISM_E10value_typeEPNSS_ISN_E10value_typeEPSO_NS1_7vsmem_tEENKUlT_SM_SN_SO_E_clISH_PS9_SI_SI_EESL_S11_SM_SN_SO_EUlS11_E0_NS1_11comp_targetILNS1_3genE3ELNS1_11target_archE908ELNS1_3gpuE7ELNS1_3repE0EEENS1_38merge_mergepath_config_static_selectorELNS0_4arch9wavefront6targetE1EEEvSN_,@function
_ZN7rocprim17ROCPRIM_400000_NS6detail17trampoline_kernelINS0_14default_configENS1_38merge_sort_block_merge_config_selectorIN6thrust23THRUST_200600_302600_NS5tupleIffNS6_9null_typeES8_S8_S8_S8_S8_S8_S8_EENS0_10empty_typeEEEZZNS1_27merge_sort_block_merge_implIS3_NS6_6detail15normal_iteratorINS6_10device_ptrIS9_EEEEPSA_mNS6_4lessIS9_EEEE10hipError_tT0_T1_T2_jT3_P12ihipStream_tbPNSt15iterator_traitsISM_E10value_typeEPNSS_ISN_E10value_typeEPSO_NS1_7vsmem_tEENKUlT_SM_SN_SO_E_clISH_PS9_SI_SI_EESL_S11_SM_SN_SO_EUlS11_E0_NS1_11comp_targetILNS1_3genE3ELNS1_11target_archE908ELNS1_3gpuE7ELNS1_3repE0EEENS1_38merge_mergepath_config_static_selectorELNS0_4arch9wavefront6targetE1EEEvSN_: ; @_ZN7rocprim17ROCPRIM_400000_NS6detail17trampoline_kernelINS0_14default_configENS1_38merge_sort_block_merge_config_selectorIN6thrust23THRUST_200600_302600_NS5tupleIffNS6_9null_typeES8_S8_S8_S8_S8_S8_S8_EENS0_10empty_typeEEEZZNS1_27merge_sort_block_merge_implIS3_NS6_6detail15normal_iteratorINS6_10device_ptrIS9_EEEEPSA_mNS6_4lessIS9_EEEE10hipError_tT0_T1_T2_jT3_P12ihipStream_tbPNSt15iterator_traitsISM_E10value_typeEPNSS_ISN_E10value_typeEPSO_NS1_7vsmem_tEENKUlT_SM_SN_SO_E_clISH_PS9_SI_SI_EESL_S11_SM_SN_SO_EUlS11_E0_NS1_11comp_targetILNS1_3genE3ELNS1_11target_archE908ELNS1_3gpuE7ELNS1_3repE0EEENS1_38merge_mergepath_config_static_selectorELNS0_4arch9wavefront6targetE1EEEvSN_
; %bb.0:
	.section	.rodata,"a",@progbits
	.p2align	6, 0x0
	.amdhsa_kernel _ZN7rocprim17ROCPRIM_400000_NS6detail17trampoline_kernelINS0_14default_configENS1_38merge_sort_block_merge_config_selectorIN6thrust23THRUST_200600_302600_NS5tupleIffNS6_9null_typeES8_S8_S8_S8_S8_S8_S8_EENS0_10empty_typeEEEZZNS1_27merge_sort_block_merge_implIS3_NS6_6detail15normal_iteratorINS6_10device_ptrIS9_EEEEPSA_mNS6_4lessIS9_EEEE10hipError_tT0_T1_T2_jT3_P12ihipStream_tbPNSt15iterator_traitsISM_E10value_typeEPNSS_ISN_E10value_typeEPSO_NS1_7vsmem_tEENKUlT_SM_SN_SO_E_clISH_PS9_SI_SI_EESL_S11_SM_SN_SO_EUlS11_E0_NS1_11comp_targetILNS1_3genE3ELNS1_11target_archE908ELNS1_3gpuE7ELNS1_3repE0EEENS1_38merge_mergepath_config_static_selectorELNS0_4arch9wavefront6targetE1EEEvSN_
		.amdhsa_group_segment_fixed_size 0
		.amdhsa_private_segment_fixed_size 0
		.amdhsa_kernarg_size 72
		.amdhsa_user_sgpr_count 2
		.amdhsa_user_sgpr_dispatch_ptr 0
		.amdhsa_user_sgpr_queue_ptr 0
		.amdhsa_user_sgpr_kernarg_segment_ptr 1
		.amdhsa_user_sgpr_dispatch_id 0
		.amdhsa_user_sgpr_kernarg_preload_length 0
		.amdhsa_user_sgpr_kernarg_preload_offset 0
		.amdhsa_user_sgpr_private_segment_size 0
		.amdhsa_uses_dynamic_stack 0
		.amdhsa_enable_private_segment 0
		.amdhsa_system_sgpr_workgroup_id_x 1
		.amdhsa_system_sgpr_workgroup_id_y 0
		.amdhsa_system_sgpr_workgroup_id_z 0
		.amdhsa_system_sgpr_workgroup_info 0
		.amdhsa_system_vgpr_workitem_id 0
		.amdhsa_next_free_vgpr 1
		.amdhsa_next_free_sgpr 0
		.amdhsa_accum_offset 4
		.amdhsa_reserve_vcc 0
		.amdhsa_float_round_mode_32 0
		.amdhsa_float_round_mode_16_64 0
		.amdhsa_float_denorm_mode_32 3
		.amdhsa_float_denorm_mode_16_64 3
		.amdhsa_dx10_clamp 1
		.amdhsa_ieee_mode 1
		.amdhsa_fp16_overflow 0
		.amdhsa_tg_split 0
		.amdhsa_exception_fp_ieee_invalid_op 0
		.amdhsa_exception_fp_denorm_src 0
		.amdhsa_exception_fp_ieee_div_zero 0
		.amdhsa_exception_fp_ieee_overflow 0
		.amdhsa_exception_fp_ieee_underflow 0
		.amdhsa_exception_fp_ieee_inexact 0
		.amdhsa_exception_int_div_zero 0
	.end_amdhsa_kernel
	.section	.text._ZN7rocprim17ROCPRIM_400000_NS6detail17trampoline_kernelINS0_14default_configENS1_38merge_sort_block_merge_config_selectorIN6thrust23THRUST_200600_302600_NS5tupleIffNS6_9null_typeES8_S8_S8_S8_S8_S8_S8_EENS0_10empty_typeEEEZZNS1_27merge_sort_block_merge_implIS3_NS6_6detail15normal_iteratorINS6_10device_ptrIS9_EEEEPSA_mNS6_4lessIS9_EEEE10hipError_tT0_T1_T2_jT3_P12ihipStream_tbPNSt15iterator_traitsISM_E10value_typeEPNSS_ISN_E10value_typeEPSO_NS1_7vsmem_tEENKUlT_SM_SN_SO_E_clISH_PS9_SI_SI_EESL_S11_SM_SN_SO_EUlS11_E0_NS1_11comp_targetILNS1_3genE3ELNS1_11target_archE908ELNS1_3gpuE7ELNS1_3repE0EEENS1_38merge_mergepath_config_static_selectorELNS0_4arch9wavefront6targetE1EEEvSN_,"axG",@progbits,_ZN7rocprim17ROCPRIM_400000_NS6detail17trampoline_kernelINS0_14default_configENS1_38merge_sort_block_merge_config_selectorIN6thrust23THRUST_200600_302600_NS5tupleIffNS6_9null_typeES8_S8_S8_S8_S8_S8_S8_EENS0_10empty_typeEEEZZNS1_27merge_sort_block_merge_implIS3_NS6_6detail15normal_iteratorINS6_10device_ptrIS9_EEEEPSA_mNS6_4lessIS9_EEEE10hipError_tT0_T1_T2_jT3_P12ihipStream_tbPNSt15iterator_traitsISM_E10value_typeEPNSS_ISN_E10value_typeEPSO_NS1_7vsmem_tEENKUlT_SM_SN_SO_E_clISH_PS9_SI_SI_EESL_S11_SM_SN_SO_EUlS11_E0_NS1_11comp_targetILNS1_3genE3ELNS1_11target_archE908ELNS1_3gpuE7ELNS1_3repE0EEENS1_38merge_mergepath_config_static_selectorELNS0_4arch9wavefront6targetE1EEEvSN_,comdat
.Lfunc_end63:
	.size	_ZN7rocprim17ROCPRIM_400000_NS6detail17trampoline_kernelINS0_14default_configENS1_38merge_sort_block_merge_config_selectorIN6thrust23THRUST_200600_302600_NS5tupleIffNS6_9null_typeES8_S8_S8_S8_S8_S8_S8_EENS0_10empty_typeEEEZZNS1_27merge_sort_block_merge_implIS3_NS6_6detail15normal_iteratorINS6_10device_ptrIS9_EEEEPSA_mNS6_4lessIS9_EEEE10hipError_tT0_T1_T2_jT3_P12ihipStream_tbPNSt15iterator_traitsISM_E10value_typeEPNSS_ISN_E10value_typeEPSO_NS1_7vsmem_tEENKUlT_SM_SN_SO_E_clISH_PS9_SI_SI_EESL_S11_SM_SN_SO_EUlS11_E0_NS1_11comp_targetILNS1_3genE3ELNS1_11target_archE908ELNS1_3gpuE7ELNS1_3repE0EEENS1_38merge_mergepath_config_static_selectorELNS0_4arch9wavefront6targetE1EEEvSN_, .Lfunc_end63-_ZN7rocprim17ROCPRIM_400000_NS6detail17trampoline_kernelINS0_14default_configENS1_38merge_sort_block_merge_config_selectorIN6thrust23THRUST_200600_302600_NS5tupleIffNS6_9null_typeES8_S8_S8_S8_S8_S8_S8_EENS0_10empty_typeEEEZZNS1_27merge_sort_block_merge_implIS3_NS6_6detail15normal_iteratorINS6_10device_ptrIS9_EEEEPSA_mNS6_4lessIS9_EEEE10hipError_tT0_T1_T2_jT3_P12ihipStream_tbPNSt15iterator_traitsISM_E10value_typeEPNSS_ISN_E10value_typeEPSO_NS1_7vsmem_tEENKUlT_SM_SN_SO_E_clISH_PS9_SI_SI_EESL_S11_SM_SN_SO_EUlS11_E0_NS1_11comp_targetILNS1_3genE3ELNS1_11target_archE908ELNS1_3gpuE7ELNS1_3repE0EEENS1_38merge_mergepath_config_static_selectorELNS0_4arch9wavefront6targetE1EEEvSN_
                                        ; -- End function
	.section	.AMDGPU.csdata,"",@progbits
; Kernel info:
; codeLenInByte = 0
; NumSgprs: 6
; NumVgprs: 0
; NumAgprs: 0
; TotalNumVgprs: 0
; ScratchSize: 0
; MemoryBound: 0
; FloatMode: 240
; IeeeMode: 1
; LDSByteSize: 0 bytes/workgroup (compile time only)
; SGPRBlocks: 0
; VGPRBlocks: 0
; NumSGPRsForWavesPerEU: 6
; NumVGPRsForWavesPerEU: 1
; AccumOffset: 4
; Occupancy: 8
; WaveLimiterHint : 0
; COMPUTE_PGM_RSRC2:SCRATCH_EN: 0
; COMPUTE_PGM_RSRC2:USER_SGPR: 2
; COMPUTE_PGM_RSRC2:TRAP_HANDLER: 0
; COMPUTE_PGM_RSRC2:TGID_X_EN: 1
; COMPUTE_PGM_RSRC2:TGID_Y_EN: 0
; COMPUTE_PGM_RSRC2:TGID_Z_EN: 0
; COMPUTE_PGM_RSRC2:TIDIG_COMP_CNT: 0
; COMPUTE_PGM_RSRC3_GFX90A:ACCUM_OFFSET: 0
; COMPUTE_PGM_RSRC3_GFX90A:TG_SPLIT: 0
	.section	.text._ZN7rocprim17ROCPRIM_400000_NS6detail17trampoline_kernelINS0_14default_configENS1_38merge_sort_block_merge_config_selectorIN6thrust23THRUST_200600_302600_NS5tupleIffNS6_9null_typeES8_S8_S8_S8_S8_S8_S8_EENS0_10empty_typeEEEZZNS1_27merge_sort_block_merge_implIS3_NS6_6detail15normal_iteratorINS6_10device_ptrIS9_EEEEPSA_mNS6_4lessIS9_EEEE10hipError_tT0_T1_T2_jT3_P12ihipStream_tbPNSt15iterator_traitsISM_E10value_typeEPNSS_ISN_E10value_typeEPSO_NS1_7vsmem_tEENKUlT_SM_SN_SO_E_clISH_PS9_SI_SI_EESL_S11_SM_SN_SO_EUlS11_E0_NS1_11comp_targetILNS1_3genE2ELNS1_11target_archE906ELNS1_3gpuE6ELNS1_3repE0EEENS1_38merge_mergepath_config_static_selectorELNS0_4arch9wavefront6targetE1EEEvSN_,"axG",@progbits,_ZN7rocprim17ROCPRIM_400000_NS6detail17trampoline_kernelINS0_14default_configENS1_38merge_sort_block_merge_config_selectorIN6thrust23THRUST_200600_302600_NS5tupleIffNS6_9null_typeES8_S8_S8_S8_S8_S8_S8_EENS0_10empty_typeEEEZZNS1_27merge_sort_block_merge_implIS3_NS6_6detail15normal_iteratorINS6_10device_ptrIS9_EEEEPSA_mNS6_4lessIS9_EEEE10hipError_tT0_T1_T2_jT3_P12ihipStream_tbPNSt15iterator_traitsISM_E10value_typeEPNSS_ISN_E10value_typeEPSO_NS1_7vsmem_tEENKUlT_SM_SN_SO_E_clISH_PS9_SI_SI_EESL_S11_SM_SN_SO_EUlS11_E0_NS1_11comp_targetILNS1_3genE2ELNS1_11target_archE906ELNS1_3gpuE6ELNS1_3repE0EEENS1_38merge_mergepath_config_static_selectorELNS0_4arch9wavefront6targetE1EEEvSN_,comdat
	.protected	_ZN7rocprim17ROCPRIM_400000_NS6detail17trampoline_kernelINS0_14default_configENS1_38merge_sort_block_merge_config_selectorIN6thrust23THRUST_200600_302600_NS5tupleIffNS6_9null_typeES8_S8_S8_S8_S8_S8_S8_EENS0_10empty_typeEEEZZNS1_27merge_sort_block_merge_implIS3_NS6_6detail15normal_iteratorINS6_10device_ptrIS9_EEEEPSA_mNS6_4lessIS9_EEEE10hipError_tT0_T1_T2_jT3_P12ihipStream_tbPNSt15iterator_traitsISM_E10value_typeEPNSS_ISN_E10value_typeEPSO_NS1_7vsmem_tEENKUlT_SM_SN_SO_E_clISH_PS9_SI_SI_EESL_S11_SM_SN_SO_EUlS11_E0_NS1_11comp_targetILNS1_3genE2ELNS1_11target_archE906ELNS1_3gpuE6ELNS1_3repE0EEENS1_38merge_mergepath_config_static_selectorELNS0_4arch9wavefront6targetE1EEEvSN_ ; -- Begin function _ZN7rocprim17ROCPRIM_400000_NS6detail17trampoline_kernelINS0_14default_configENS1_38merge_sort_block_merge_config_selectorIN6thrust23THRUST_200600_302600_NS5tupleIffNS6_9null_typeES8_S8_S8_S8_S8_S8_S8_EENS0_10empty_typeEEEZZNS1_27merge_sort_block_merge_implIS3_NS6_6detail15normal_iteratorINS6_10device_ptrIS9_EEEEPSA_mNS6_4lessIS9_EEEE10hipError_tT0_T1_T2_jT3_P12ihipStream_tbPNSt15iterator_traitsISM_E10value_typeEPNSS_ISN_E10value_typeEPSO_NS1_7vsmem_tEENKUlT_SM_SN_SO_E_clISH_PS9_SI_SI_EESL_S11_SM_SN_SO_EUlS11_E0_NS1_11comp_targetILNS1_3genE2ELNS1_11target_archE906ELNS1_3gpuE6ELNS1_3repE0EEENS1_38merge_mergepath_config_static_selectorELNS0_4arch9wavefront6targetE1EEEvSN_
	.globl	_ZN7rocprim17ROCPRIM_400000_NS6detail17trampoline_kernelINS0_14default_configENS1_38merge_sort_block_merge_config_selectorIN6thrust23THRUST_200600_302600_NS5tupleIffNS6_9null_typeES8_S8_S8_S8_S8_S8_S8_EENS0_10empty_typeEEEZZNS1_27merge_sort_block_merge_implIS3_NS6_6detail15normal_iteratorINS6_10device_ptrIS9_EEEEPSA_mNS6_4lessIS9_EEEE10hipError_tT0_T1_T2_jT3_P12ihipStream_tbPNSt15iterator_traitsISM_E10value_typeEPNSS_ISN_E10value_typeEPSO_NS1_7vsmem_tEENKUlT_SM_SN_SO_E_clISH_PS9_SI_SI_EESL_S11_SM_SN_SO_EUlS11_E0_NS1_11comp_targetILNS1_3genE2ELNS1_11target_archE906ELNS1_3gpuE6ELNS1_3repE0EEENS1_38merge_mergepath_config_static_selectorELNS0_4arch9wavefront6targetE1EEEvSN_
	.p2align	8
	.type	_ZN7rocprim17ROCPRIM_400000_NS6detail17trampoline_kernelINS0_14default_configENS1_38merge_sort_block_merge_config_selectorIN6thrust23THRUST_200600_302600_NS5tupleIffNS6_9null_typeES8_S8_S8_S8_S8_S8_S8_EENS0_10empty_typeEEEZZNS1_27merge_sort_block_merge_implIS3_NS6_6detail15normal_iteratorINS6_10device_ptrIS9_EEEEPSA_mNS6_4lessIS9_EEEE10hipError_tT0_T1_T2_jT3_P12ihipStream_tbPNSt15iterator_traitsISM_E10value_typeEPNSS_ISN_E10value_typeEPSO_NS1_7vsmem_tEENKUlT_SM_SN_SO_E_clISH_PS9_SI_SI_EESL_S11_SM_SN_SO_EUlS11_E0_NS1_11comp_targetILNS1_3genE2ELNS1_11target_archE906ELNS1_3gpuE6ELNS1_3repE0EEENS1_38merge_mergepath_config_static_selectorELNS0_4arch9wavefront6targetE1EEEvSN_,@function
_ZN7rocprim17ROCPRIM_400000_NS6detail17trampoline_kernelINS0_14default_configENS1_38merge_sort_block_merge_config_selectorIN6thrust23THRUST_200600_302600_NS5tupleIffNS6_9null_typeES8_S8_S8_S8_S8_S8_S8_EENS0_10empty_typeEEEZZNS1_27merge_sort_block_merge_implIS3_NS6_6detail15normal_iteratorINS6_10device_ptrIS9_EEEEPSA_mNS6_4lessIS9_EEEE10hipError_tT0_T1_T2_jT3_P12ihipStream_tbPNSt15iterator_traitsISM_E10value_typeEPNSS_ISN_E10value_typeEPSO_NS1_7vsmem_tEENKUlT_SM_SN_SO_E_clISH_PS9_SI_SI_EESL_S11_SM_SN_SO_EUlS11_E0_NS1_11comp_targetILNS1_3genE2ELNS1_11target_archE906ELNS1_3gpuE6ELNS1_3repE0EEENS1_38merge_mergepath_config_static_selectorELNS0_4arch9wavefront6targetE1EEEvSN_: ; @_ZN7rocprim17ROCPRIM_400000_NS6detail17trampoline_kernelINS0_14default_configENS1_38merge_sort_block_merge_config_selectorIN6thrust23THRUST_200600_302600_NS5tupleIffNS6_9null_typeES8_S8_S8_S8_S8_S8_S8_EENS0_10empty_typeEEEZZNS1_27merge_sort_block_merge_implIS3_NS6_6detail15normal_iteratorINS6_10device_ptrIS9_EEEEPSA_mNS6_4lessIS9_EEEE10hipError_tT0_T1_T2_jT3_P12ihipStream_tbPNSt15iterator_traitsISM_E10value_typeEPNSS_ISN_E10value_typeEPSO_NS1_7vsmem_tEENKUlT_SM_SN_SO_E_clISH_PS9_SI_SI_EESL_S11_SM_SN_SO_EUlS11_E0_NS1_11comp_targetILNS1_3genE2ELNS1_11target_archE906ELNS1_3gpuE6ELNS1_3repE0EEENS1_38merge_mergepath_config_static_selectorELNS0_4arch9wavefront6targetE1EEEvSN_
; %bb.0:
	.section	.rodata,"a",@progbits
	.p2align	6, 0x0
	.amdhsa_kernel _ZN7rocprim17ROCPRIM_400000_NS6detail17trampoline_kernelINS0_14default_configENS1_38merge_sort_block_merge_config_selectorIN6thrust23THRUST_200600_302600_NS5tupleIffNS6_9null_typeES8_S8_S8_S8_S8_S8_S8_EENS0_10empty_typeEEEZZNS1_27merge_sort_block_merge_implIS3_NS6_6detail15normal_iteratorINS6_10device_ptrIS9_EEEEPSA_mNS6_4lessIS9_EEEE10hipError_tT0_T1_T2_jT3_P12ihipStream_tbPNSt15iterator_traitsISM_E10value_typeEPNSS_ISN_E10value_typeEPSO_NS1_7vsmem_tEENKUlT_SM_SN_SO_E_clISH_PS9_SI_SI_EESL_S11_SM_SN_SO_EUlS11_E0_NS1_11comp_targetILNS1_3genE2ELNS1_11target_archE906ELNS1_3gpuE6ELNS1_3repE0EEENS1_38merge_mergepath_config_static_selectorELNS0_4arch9wavefront6targetE1EEEvSN_
		.amdhsa_group_segment_fixed_size 0
		.amdhsa_private_segment_fixed_size 0
		.amdhsa_kernarg_size 72
		.amdhsa_user_sgpr_count 2
		.amdhsa_user_sgpr_dispatch_ptr 0
		.amdhsa_user_sgpr_queue_ptr 0
		.amdhsa_user_sgpr_kernarg_segment_ptr 1
		.amdhsa_user_sgpr_dispatch_id 0
		.amdhsa_user_sgpr_kernarg_preload_length 0
		.amdhsa_user_sgpr_kernarg_preload_offset 0
		.amdhsa_user_sgpr_private_segment_size 0
		.amdhsa_uses_dynamic_stack 0
		.amdhsa_enable_private_segment 0
		.amdhsa_system_sgpr_workgroup_id_x 1
		.amdhsa_system_sgpr_workgroup_id_y 0
		.amdhsa_system_sgpr_workgroup_id_z 0
		.amdhsa_system_sgpr_workgroup_info 0
		.amdhsa_system_vgpr_workitem_id 0
		.amdhsa_next_free_vgpr 1
		.amdhsa_next_free_sgpr 0
		.amdhsa_accum_offset 4
		.amdhsa_reserve_vcc 0
		.amdhsa_float_round_mode_32 0
		.amdhsa_float_round_mode_16_64 0
		.amdhsa_float_denorm_mode_32 3
		.amdhsa_float_denorm_mode_16_64 3
		.amdhsa_dx10_clamp 1
		.amdhsa_ieee_mode 1
		.amdhsa_fp16_overflow 0
		.amdhsa_tg_split 0
		.amdhsa_exception_fp_ieee_invalid_op 0
		.amdhsa_exception_fp_denorm_src 0
		.amdhsa_exception_fp_ieee_div_zero 0
		.amdhsa_exception_fp_ieee_overflow 0
		.amdhsa_exception_fp_ieee_underflow 0
		.amdhsa_exception_fp_ieee_inexact 0
		.amdhsa_exception_int_div_zero 0
	.end_amdhsa_kernel
	.section	.text._ZN7rocprim17ROCPRIM_400000_NS6detail17trampoline_kernelINS0_14default_configENS1_38merge_sort_block_merge_config_selectorIN6thrust23THRUST_200600_302600_NS5tupleIffNS6_9null_typeES8_S8_S8_S8_S8_S8_S8_EENS0_10empty_typeEEEZZNS1_27merge_sort_block_merge_implIS3_NS6_6detail15normal_iteratorINS6_10device_ptrIS9_EEEEPSA_mNS6_4lessIS9_EEEE10hipError_tT0_T1_T2_jT3_P12ihipStream_tbPNSt15iterator_traitsISM_E10value_typeEPNSS_ISN_E10value_typeEPSO_NS1_7vsmem_tEENKUlT_SM_SN_SO_E_clISH_PS9_SI_SI_EESL_S11_SM_SN_SO_EUlS11_E0_NS1_11comp_targetILNS1_3genE2ELNS1_11target_archE906ELNS1_3gpuE6ELNS1_3repE0EEENS1_38merge_mergepath_config_static_selectorELNS0_4arch9wavefront6targetE1EEEvSN_,"axG",@progbits,_ZN7rocprim17ROCPRIM_400000_NS6detail17trampoline_kernelINS0_14default_configENS1_38merge_sort_block_merge_config_selectorIN6thrust23THRUST_200600_302600_NS5tupleIffNS6_9null_typeES8_S8_S8_S8_S8_S8_S8_EENS0_10empty_typeEEEZZNS1_27merge_sort_block_merge_implIS3_NS6_6detail15normal_iteratorINS6_10device_ptrIS9_EEEEPSA_mNS6_4lessIS9_EEEE10hipError_tT0_T1_T2_jT3_P12ihipStream_tbPNSt15iterator_traitsISM_E10value_typeEPNSS_ISN_E10value_typeEPSO_NS1_7vsmem_tEENKUlT_SM_SN_SO_E_clISH_PS9_SI_SI_EESL_S11_SM_SN_SO_EUlS11_E0_NS1_11comp_targetILNS1_3genE2ELNS1_11target_archE906ELNS1_3gpuE6ELNS1_3repE0EEENS1_38merge_mergepath_config_static_selectorELNS0_4arch9wavefront6targetE1EEEvSN_,comdat
.Lfunc_end64:
	.size	_ZN7rocprim17ROCPRIM_400000_NS6detail17trampoline_kernelINS0_14default_configENS1_38merge_sort_block_merge_config_selectorIN6thrust23THRUST_200600_302600_NS5tupleIffNS6_9null_typeES8_S8_S8_S8_S8_S8_S8_EENS0_10empty_typeEEEZZNS1_27merge_sort_block_merge_implIS3_NS6_6detail15normal_iteratorINS6_10device_ptrIS9_EEEEPSA_mNS6_4lessIS9_EEEE10hipError_tT0_T1_T2_jT3_P12ihipStream_tbPNSt15iterator_traitsISM_E10value_typeEPNSS_ISN_E10value_typeEPSO_NS1_7vsmem_tEENKUlT_SM_SN_SO_E_clISH_PS9_SI_SI_EESL_S11_SM_SN_SO_EUlS11_E0_NS1_11comp_targetILNS1_3genE2ELNS1_11target_archE906ELNS1_3gpuE6ELNS1_3repE0EEENS1_38merge_mergepath_config_static_selectorELNS0_4arch9wavefront6targetE1EEEvSN_, .Lfunc_end64-_ZN7rocprim17ROCPRIM_400000_NS6detail17trampoline_kernelINS0_14default_configENS1_38merge_sort_block_merge_config_selectorIN6thrust23THRUST_200600_302600_NS5tupleIffNS6_9null_typeES8_S8_S8_S8_S8_S8_S8_EENS0_10empty_typeEEEZZNS1_27merge_sort_block_merge_implIS3_NS6_6detail15normal_iteratorINS6_10device_ptrIS9_EEEEPSA_mNS6_4lessIS9_EEEE10hipError_tT0_T1_T2_jT3_P12ihipStream_tbPNSt15iterator_traitsISM_E10value_typeEPNSS_ISN_E10value_typeEPSO_NS1_7vsmem_tEENKUlT_SM_SN_SO_E_clISH_PS9_SI_SI_EESL_S11_SM_SN_SO_EUlS11_E0_NS1_11comp_targetILNS1_3genE2ELNS1_11target_archE906ELNS1_3gpuE6ELNS1_3repE0EEENS1_38merge_mergepath_config_static_selectorELNS0_4arch9wavefront6targetE1EEEvSN_
                                        ; -- End function
	.section	.AMDGPU.csdata,"",@progbits
; Kernel info:
; codeLenInByte = 0
; NumSgprs: 6
; NumVgprs: 0
; NumAgprs: 0
; TotalNumVgprs: 0
; ScratchSize: 0
; MemoryBound: 0
; FloatMode: 240
; IeeeMode: 1
; LDSByteSize: 0 bytes/workgroup (compile time only)
; SGPRBlocks: 0
; VGPRBlocks: 0
; NumSGPRsForWavesPerEU: 6
; NumVGPRsForWavesPerEU: 1
; AccumOffset: 4
; Occupancy: 8
; WaveLimiterHint : 0
; COMPUTE_PGM_RSRC2:SCRATCH_EN: 0
; COMPUTE_PGM_RSRC2:USER_SGPR: 2
; COMPUTE_PGM_RSRC2:TRAP_HANDLER: 0
; COMPUTE_PGM_RSRC2:TGID_X_EN: 1
; COMPUTE_PGM_RSRC2:TGID_Y_EN: 0
; COMPUTE_PGM_RSRC2:TGID_Z_EN: 0
; COMPUTE_PGM_RSRC2:TIDIG_COMP_CNT: 0
; COMPUTE_PGM_RSRC3_GFX90A:ACCUM_OFFSET: 0
; COMPUTE_PGM_RSRC3_GFX90A:TG_SPLIT: 0
	.section	.text._ZN7rocprim17ROCPRIM_400000_NS6detail17trampoline_kernelINS0_14default_configENS1_38merge_sort_block_merge_config_selectorIN6thrust23THRUST_200600_302600_NS5tupleIffNS6_9null_typeES8_S8_S8_S8_S8_S8_S8_EENS0_10empty_typeEEEZZNS1_27merge_sort_block_merge_implIS3_NS6_6detail15normal_iteratorINS6_10device_ptrIS9_EEEEPSA_mNS6_4lessIS9_EEEE10hipError_tT0_T1_T2_jT3_P12ihipStream_tbPNSt15iterator_traitsISM_E10value_typeEPNSS_ISN_E10value_typeEPSO_NS1_7vsmem_tEENKUlT_SM_SN_SO_E_clISH_PS9_SI_SI_EESL_S11_SM_SN_SO_EUlS11_E0_NS1_11comp_targetILNS1_3genE9ELNS1_11target_archE1100ELNS1_3gpuE3ELNS1_3repE0EEENS1_38merge_mergepath_config_static_selectorELNS0_4arch9wavefront6targetE1EEEvSN_,"axG",@progbits,_ZN7rocprim17ROCPRIM_400000_NS6detail17trampoline_kernelINS0_14default_configENS1_38merge_sort_block_merge_config_selectorIN6thrust23THRUST_200600_302600_NS5tupleIffNS6_9null_typeES8_S8_S8_S8_S8_S8_S8_EENS0_10empty_typeEEEZZNS1_27merge_sort_block_merge_implIS3_NS6_6detail15normal_iteratorINS6_10device_ptrIS9_EEEEPSA_mNS6_4lessIS9_EEEE10hipError_tT0_T1_T2_jT3_P12ihipStream_tbPNSt15iterator_traitsISM_E10value_typeEPNSS_ISN_E10value_typeEPSO_NS1_7vsmem_tEENKUlT_SM_SN_SO_E_clISH_PS9_SI_SI_EESL_S11_SM_SN_SO_EUlS11_E0_NS1_11comp_targetILNS1_3genE9ELNS1_11target_archE1100ELNS1_3gpuE3ELNS1_3repE0EEENS1_38merge_mergepath_config_static_selectorELNS0_4arch9wavefront6targetE1EEEvSN_,comdat
	.protected	_ZN7rocprim17ROCPRIM_400000_NS6detail17trampoline_kernelINS0_14default_configENS1_38merge_sort_block_merge_config_selectorIN6thrust23THRUST_200600_302600_NS5tupleIffNS6_9null_typeES8_S8_S8_S8_S8_S8_S8_EENS0_10empty_typeEEEZZNS1_27merge_sort_block_merge_implIS3_NS6_6detail15normal_iteratorINS6_10device_ptrIS9_EEEEPSA_mNS6_4lessIS9_EEEE10hipError_tT0_T1_T2_jT3_P12ihipStream_tbPNSt15iterator_traitsISM_E10value_typeEPNSS_ISN_E10value_typeEPSO_NS1_7vsmem_tEENKUlT_SM_SN_SO_E_clISH_PS9_SI_SI_EESL_S11_SM_SN_SO_EUlS11_E0_NS1_11comp_targetILNS1_3genE9ELNS1_11target_archE1100ELNS1_3gpuE3ELNS1_3repE0EEENS1_38merge_mergepath_config_static_selectorELNS0_4arch9wavefront6targetE1EEEvSN_ ; -- Begin function _ZN7rocprim17ROCPRIM_400000_NS6detail17trampoline_kernelINS0_14default_configENS1_38merge_sort_block_merge_config_selectorIN6thrust23THRUST_200600_302600_NS5tupleIffNS6_9null_typeES8_S8_S8_S8_S8_S8_S8_EENS0_10empty_typeEEEZZNS1_27merge_sort_block_merge_implIS3_NS6_6detail15normal_iteratorINS6_10device_ptrIS9_EEEEPSA_mNS6_4lessIS9_EEEE10hipError_tT0_T1_T2_jT3_P12ihipStream_tbPNSt15iterator_traitsISM_E10value_typeEPNSS_ISN_E10value_typeEPSO_NS1_7vsmem_tEENKUlT_SM_SN_SO_E_clISH_PS9_SI_SI_EESL_S11_SM_SN_SO_EUlS11_E0_NS1_11comp_targetILNS1_3genE9ELNS1_11target_archE1100ELNS1_3gpuE3ELNS1_3repE0EEENS1_38merge_mergepath_config_static_selectorELNS0_4arch9wavefront6targetE1EEEvSN_
	.globl	_ZN7rocprim17ROCPRIM_400000_NS6detail17trampoline_kernelINS0_14default_configENS1_38merge_sort_block_merge_config_selectorIN6thrust23THRUST_200600_302600_NS5tupleIffNS6_9null_typeES8_S8_S8_S8_S8_S8_S8_EENS0_10empty_typeEEEZZNS1_27merge_sort_block_merge_implIS3_NS6_6detail15normal_iteratorINS6_10device_ptrIS9_EEEEPSA_mNS6_4lessIS9_EEEE10hipError_tT0_T1_T2_jT3_P12ihipStream_tbPNSt15iterator_traitsISM_E10value_typeEPNSS_ISN_E10value_typeEPSO_NS1_7vsmem_tEENKUlT_SM_SN_SO_E_clISH_PS9_SI_SI_EESL_S11_SM_SN_SO_EUlS11_E0_NS1_11comp_targetILNS1_3genE9ELNS1_11target_archE1100ELNS1_3gpuE3ELNS1_3repE0EEENS1_38merge_mergepath_config_static_selectorELNS0_4arch9wavefront6targetE1EEEvSN_
	.p2align	8
	.type	_ZN7rocprim17ROCPRIM_400000_NS6detail17trampoline_kernelINS0_14default_configENS1_38merge_sort_block_merge_config_selectorIN6thrust23THRUST_200600_302600_NS5tupleIffNS6_9null_typeES8_S8_S8_S8_S8_S8_S8_EENS0_10empty_typeEEEZZNS1_27merge_sort_block_merge_implIS3_NS6_6detail15normal_iteratorINS6_10device_ptrIS9_EEEEPSA_mNS6_4lessIS9_EEEE10hipError_tT0_T1_T2_jT3_P12ihipStream_tbPNSt15iterator_traitsISM_E10value_typeEPNSS_ISN_E10value_typeEPSO_NS1_7vsmem_tEENKUlT_SM_SN_SO_E_clISH_PS9_SI_SI_EESL_S11_SM_SN_SO_EUlS11_E0_NS1_11comp_targetILNS1_3genE9ELNS1_11target_archE1100ELNS1_3gpuE3ELNS1_3repE0EEENS1_38merge_mergepath_config_static_selectorELNS0_4arch9wavefront6targetE1EEEvSN_,@function
_ZN7rocprim17ROCPRIM_400000_NS6detail17trampoline_kernelINS0_14default_configENS1_38merge_sort_block_merge_config_selectorIN6thrust23THRUST_200600_302600_NS5tupleIffNS6_9null_typeES8_S8_S8_S8_S8_S8_S8_EENS0_10empty_typeEEEZZNS1_27merge_sort_block_merge_implIS3_NS6_6detail15normal_iteratorINS6_10device_ptrIS9_EEEEPSA_mNS6_4lessIS9_EEEE10hipError_tT0_T1_T2_jT3_P12ihipStream_tbPNSt15iterator_traitsISM_E10value_typeEPNSS_ISN_E10value_typeEPSO_NS1_7vsmem_tEENKUlT_SM_SN_SO_E_clISH_PS9_SI_SI_EESL_S11_SM_SN_SO_EUlS11_E0_NS1_11comp_targetILNS1_3genE9ELNS1_11target_archE1100ELNS1_3gpuE3ELNS1_3repE0EEENS1_38merge_mergepath_config_static_selectorELNS0_4arch9wavefront6targetE1EEEvSN_: ; @_ZN7rocprim17ROCPRIM_400000_NS6detail17trampoline_kernelINS0_14default_configENS1_38merge_sort_block_merge_config_selectorIN6thrust23THRUST_200600_302600_NS5tupleIffNS6_9null_typeES8_S8_S8_S8_S8_S8_S8_EENS0_10empty_typeEEEZZNS1_27merge_sort_block_merge_implIS3_NS6_6detail15normal_iteratorINS6_10device_ptrIS9_EEEEPSA_mNS6_4lessIS9_EEEE10hipError_tT0_T1_T2_jT3_P12ihipStream_tbPNSt15iterator_traitsISM_E10value_typeEPNSS_ISN_E10value_typeEPSO_NS1_7vsmem_tEENKUlT_SM_SN_SO_E_clISH_PS9_SI_SI_EESL_S11_SM_SN_SO_EUlS11_E0_NS1_11comp_targetILNS1_3genE9ELNS1_11target_archE1100ELNS1_3gpuE3ELNS1_3repE0EEENS1_38merge_mergepath_config_static_selectorELNS0_4arch9wavefront6targetE1EEEvSN_
; %bb.0:
	.section	.rodata,"a",@progbits
	.p2align	6, 0x0
	.amdhsa_kernel _ZN7rocprim17ROCPRIM_400000_NS6detail17trampoline_kernelINS0_14default_configENS1_38merge_sort_block_merge_config_selectorIN6thrust23THRUST_200600_302600_NS5tupleIffNS6_9null_typeES8_S8_S8_S8_S8_S8_S8_EENS0_10empty_typeEEEZZNS1_27merge_sort_block_merge_implIS3_NS6_6detail15normal_iteratorINS6_10device_ptrIS9_EEEEPSA_mNS6_4lessIS9_EEEE10hipError_tT0_T1_T2_jT3_P12ihipStream_tbPNSt15iterator_traitsISM_E10value_typeEPNSS_ISN_E10value_typeEPSO_NS1_7vsmem_tEENKUlT_SM_SN_SO_E_clISH_PS9_SI_SI_EESL_S11_SM_SN_SO_EUlS11_E0_NS1_11comp_targetILNS1_3genE9ELNS1_11target_archE1100ELNS1_3gpuE3ELNS1_3repE0EEENS1_38merge_mergepath_config_static_selectorELNS0_4arch9wavefront6targetE1EEEvSN_
		.amdhsa_group_segment_fixed_size 0
		.amdhsa_private_segment_fixed_size 0
		.amdhsa_kernarg_size 72
		.amdhsa_user_sgpr_count 2
		.amdhsa_user_sgpr_dispatch_ptr 0
		.amdhsa_user_sgpr_queue_ptr 0
		.amdhsa_user_sgpr_kernarg_segment_ptr 1
		.amdhsa_user_sgpr_dispatch_id 0
		.amdhsa_user_sgpr_kernarg_preload_length 0
		.amdhsa_user_sgpr_kernarg_preload_offset 0
		.amdhsa_user_sgpr_private_segment_size 0
		.amdhsa_uses_dynamic_stack 0
		.amdhsa_enable_private_segment 0
		.amdhsa_system_sgpr_workgroup_id_x 1
		.amdhsa_system_sgpr_workgroup_id_y 0
		.amdhsa_system_sgpr_workgroup_id_z 0
		.amdhsa_system_sgpr_workgroup_info 0
		.amdhsa_system_vgpr_workitem_id 0
		.amdhsa_next_free_vgpr 1
		.amdhsa_next_free_sgpr 0
		.amdhsa_accum_offset 4
		.amdhsa_reserve_vcc 0
		.amdhsa_float_round_mode_32 0
		.amdhsa_float_round_mode_16_64 0
		.amdhsa_float_denorm_mode_32 3
		.amdhsa_float_denorm_mode_16_64 3
		.amdhsa_dx10_clamp 1
		.amdhsa_ieee_mode 1
		.amdhsa_fp16_overflow 0
		.amdhsa_tg_split 0
		.amdhsa_exception_fp_ieee_invalid_op 0
		.amdhsa_exception_fp_denorm_src 0
		.amdhsa_exception_fp_ieee_div_zero 0
		.amdhsa_exception_fp_ieee_overflow 0
		.amdhsa_exception_fp_ieee_underflow 0
		.amdhsa_exception_fp_ieee_inexact 0
		.amdhsa_exception_int_div_zero 0
	.end_amdhsa_kernel
	.section	.text._ZN7rocprim17ROCPRIM_400000_NS6detail17trampoline_kernelINS0_14default_configENS1_38merge_sort_block_merge_config_selectorIN6thrust23THRUST_200600_302600_NS5tupleIffNS6_9null_typeES8_S8_S8_S8_S8_S8_S8_EENS0_10empty_typeEEEZZNS1_27merge_sort_block_merge_implIS3_NS6_6detail15normal_iteratorINS6_10device_ptrIS9_EEEEPSA_mNS6_4lessIS9_EEEE10hipError_tT0_T1_T2_jT3_P12ihipStream_tbPNSt15iterator_traitsISM_E10value_typeEPNSS_ISN_E10value_typeEPSO_NS1_7vsmem_tEENKUlT_SM_SN_SO_E_clISH_PS9_SI_SI_EESL_S11_SM_SN_SO_EUlS11_E0_NS1_11comp_targetILNS1_3genE9ELNS1_11target_archE1100ELNS1_3gpuE3ELNS1_3repE0EEENS1_38merge_mergepath_config_static_selectorELNS0_4arch9wavefront6targetE1EEEvSN_,"axG",@progbits,_ZN7rocprim17ROCPRIM_400000_NS6detail17trampoline_kernelINS0_14default_configENS1_38merge_sort_block_merge_config_selectorIN6thrust23THRUST_200600_302600_NS5tupleIffNS6_9null_typeES8_S8_S8_S8_S8_S8_S8_EENS0_10empty_typeEEEZZNS1_27merge_sort_block_merge_implIS3_NS6_6detail15normal_iteratorINS6_10device_ptrIS9_EEEEPSA_mNS6_4lessIS9_EEEE10hipError_tT0_T1_T2_jT3_P12ihipStream_tbPNSt15iterator_traitsISM_E10value_typeEPNSS_ISN_E10value_typeEPSO_NS1_7vsmem_tEENKUlT_SM_SN_SO_E_clISH_PS9_SI_SI_EESL_S11_SM_SN_SO_EUlS11_E0_NS1_11comp_targetILNS1_3genE9ELNS1_11target_archE1100ELNS1_3gpuE3ELNS1_3repE0EEENS1_38merge_mergepath_config_static_selectorELNS0_4arch9wavefront6targetE1EEEvSN_,comdat
.Lfunc_end65:
	.size	_ZN7rocprim17ROCPRIM_400000_NS6detail17trampoline_kernelINS0_14default_configENS1_38merge_sort_block_merge_config_selectorIN6thrust23THRUST_200600_302600_NS5tupleIffNS6_9null_typeES8_S8_S8_S8_S8_S8_S8_EENS0_10empty_typeEEEZZNS1_27merge_sort_block_merge_implIS3_NS6_6detail15normal_iteratorINS6_10device_ptrIS9_EEEEPSA_mNS6_4lessIS9_EEEE10hipError_tT0_T1_T2_jT3_P12ihipStream_tbPNSt15iterator_traitsISM_E10value_typeEPNSS_ISN_E10value_typeEPSO_NS1_7vsmem_tEENKUlT_SM_SN_SO_E_clISH_PS9_SI_SI_EESL_S11_SM_SN_SO_EUlS11_E0_NS1_11comp_targetILNS1_3genE9ELNS1_11target_archE1100ELNS1_3gpuE3ELNS1_3repE0EEENS1_38merge_mergepath_config_static_selectorELNS0_4arch9wavefront6targetE1EEEvSN_, .Lfunc_end65-_ZN7rocprim17ROCPRIM_400000_NS6detail17trampoline_kernelINS0_14default_configENS1_38merge_sort_block_merge_config_selectorIN6thrust23THRUST_200600_302600_NS5tupleIffNS6_9null_typeES8_S8_S8_S8_S8_S8_S8_EENS0_10empty_typeEEEZZNS1_27merge_sort_block_merge_implIS3_NS6_6detail15normal_iteratorINS6_10device_ptrIS9_EEEEPSA_mNS6_4lessIS9_EEEE10hipError_tT0_T1_T2_jT3_P12ihipStream_tbPNSt15iterator_traitsISM_E10value_typeEPNSS_ISN_E10value_typeEPSO_NS1_7vsmem_tEENKUlT_SM_SN_SO_E_clISH_PS9_SI_SI_EESL_S11_SM_SN_SO_EUlS11_E0_NS1_11comp_targetILNS1_3genE9ELNS1_11target_archE1100ELNS1_3gpuE3ELNS1_3repE0EEENS1_38merge_mergepath_config_static_selectorELNS0_4arch9wavefront6targetE1EEEvSN_
                                        ; -- End function
	.section	.AMDGPU.csdata,"",@progbits
; Kernel info:
; codeLenInByte = 0
; NumSgprs: 6
; NumVgprs: 0
; NumAgprs: 0
; TotalNumVgprs: 0
; ScratchSize: 0
; MemoryBound: 0
; FloatMode: 240
; IeeeMode: 1
; LDSByteSize: 0 bytes/workgroup (compile time only)
; SGPRBlocks: 0
; VGPRBlocks: 0
; NumSGPRsForWavesPerEU: 6
; NumVGPRsForWavesPerEU: 1
; AccumOffset: 4
; Occupancy: 8
; WaveLimiterHint : 0
; COMPUTE_PGM_RSRC2:SCRATCH_EN: 0
; COMPUTE_PGM_RSRC2:USER_SGPR: 2
; COMPUTE_PGM_RSRC2:TRAP_HANDLER: 0
; COMPUTE_PGM_RSRC2:TGID_X_EN: 1
; COMPUTE_PGM_RSRC2:TGID_Y_EN: 0
; COMPUTE_PGM_RSRC2:TGID_Z_EN: 0
; COMPUTE_PGM_RSRC2:TIDIG_COMP_CNT: 0
; COMPUTE_PGM_RSRC3_GFX90A:ACCUM_OFFSET: 0
; COMPUTE_PGM_RSRC3_GFX90A:TG_SPLIT: 0
	.section	.text._ZN7rocprim17ROCPRIM_400000_NS6detail17trampoline_kernelINS0_14default_configENS1_38merge_sort_block_merge_config_selectorIN6thrust23THRUST_200600_302600_NS5tupleIffNS6_9null_typeES8_S8_S8_S8_S8_S8_S8_EENS0_10empty_typeEEEZZNS1_27merge_sort_block_merge_implIS3_NS6_6detail15normal_iteratorINS6_10device_ptrIS9_EEEEPSA_mNS6_4lessIS9_EEEE10hipError_tT0_T1_T2_jT3_P12ihipStream_tbPNSt15iterator_traitsISM_E10value_typeEPNSS_ISN_E10value_typeEPSO_NS1_7vsmem_tEENKUlT_SM_SN_SO_E_clISH_PS9_SI_SI_EESL_S11_SM_SN_SO_EUlS11_E0_NS1_11comp_targetILNS1_3genE8ELNS1_11target_archE1030ELNS1_3gpuE2ELNS1_3repE0EEENS1_38merge_mergepath_config_static_selectorELNS0_4arch9wavefront6targetE1EEEvSN_,"axG",@progbits,_ZN7rocprim17ROCPRIM_400000_NS6detail17trampoline_kernelINS0_14default_configENS1_38merge_sort_block_merge_config_selectorIN6thrust23THRUST_200600_302600_NS5tupleIffNS6_9null_typeES8_S8_S8_S8_S8_S8_S8_EENS0_10empty_typeEEEZZNS1_27merge_sort_block_merge_implIS3_NS6_6detail15normal_iteratorINS6_10device_ptrIS9_EEEEPSA_mNS6_4lessIS9_EEEE10hipError_tT0_T1_T2_jT3_P12ihipStream_tbPNSt15iterator_traitsISM_E10value_typeEPNSS_ISN_E10value_typeEPSO_NS1_7vsmem_tEENKUlT_SM_SN_SO_E_clISH_PS9_SI_SI_EESL_S11_SM_SN_SO_EUlS11_E0_NS1_11comp_targetILNS1_3genE8ELNS1_11target_archE1030ELNS1_3gpuE2ELNS1_3repE0EEENS1_38merge_mergepath_config_static_selectorELNS0_4arch9wavefront6targetE1EEEvSN_,comdat
	.protected	_ZN7rocprim17ROCPRIM_400000_NS6detail17trampoline_kernelINS0_14default_configENS1_38merge_sort_block_merge_config_selectorIN6thrust23THRUST_200600_302600_NS5tupleIffNS6_9null_typeES8_S8_S8_S8_S8_S8_S8_EENS0_10empty_typeEEEZZNS1_27merge_sort_block_merge_implIS3_NS6_6detail15normal_iteratorINS6_10device_ptrIS9_EEEEPSA_mNS6_4lessIS9_EEEE10hipError_tT0_T1_T2_jT3_P12ihipStream_tbPNSt15iterator_traitsISM_E10value_typeEPNSS_ISN_E10value_typeEPSO_NS1_7vsmem_tEENKUlT_SM_SN_SO_E_clISH_PS9_SI_SI_EESL_S11_SM_SN_SO_EUlS11_E0_NS1_11comp_targetILNS1_3genE8ELNS1_11target_archE1030ELNS1_3gpuE2ELNS1_3repE0EEENS1_38merge_mergepath_config_static_selectorELNS0_4arch9wavefront6targetE1EEEvSN_ ; -- Begin function _ZN7rocprim17ROCPRIM_400000_NS6detail17trampoline_kernelINS0_14default_configENS1_38merge_sort_block_merge_config_selectorIN6thrust23THRUST_200600_302600_NS5tupleIffNS6_9null_typeES8_S8_S8_S8_S8_S8_S8_EENS0_10empty_typeEEEZZNS1_27merge_sort_block_merge_implIS3_NS6_6detail15normal_iteratorINS6_10device_ptrIS9_EEEEPSA_mNS6_4lessIS9_EEEE10hipError_tT0_T1_T2_jT3_P12ihipStream_tbPNSt15iterator_traitsISM_E10value_typeEPNSS_ISN_E10value_typeEPSO_NS1_7vsmem_tEENKUlT_SM_SN_SO_E_clISH_PS9_SI_SI_EESL_S11_SM_SN_SO_EUlS11_E0_NS1_11comp_targetILNS1_3genE8ELNS1_11target_archE1030ELNS1_3gpuE2ELNS1_3repE0EEENS1_38merge_mergepath_config_static_selectorELNS0_4arch9wavefront6targetE1EEEvSN_
	.globl	_ZN7rocprim17ROCPRIM_400000_NS6detail17trampoline_kernelINS0_14default_configENS1_38merge_sort_block_merge_config_selectorIN6thrust23THRUST_200600_302600_NS5tupleIffNS6_9null_typeES8_S8_S8_S8_S8_S8_S8_EENS0_10empty_typeEEEZZNS1_27merge_sort_block_merge_implIS3_NS6_6detail15normal_iteratorINS6_10device_ptrIS9_EEEEPSA_mNS6_4lessIS9_EEEE10hipError_tT0_T1_T2_jT3_P12ihipStream_tbPNSt15iterator_traitsISM_E10value_typeEPNSS_ISN_E10value_typeEPSO_NS1_7vsmem_tEENKUlT_SM_SN_SO_E_clISH_PS9_SI_SI_EESL_S11_SM_SN_SO_EUlS11_E0_NS1_11comp_targetILNS1_3genE8ELNS1_11target_archE1030ELNS1_3gpuE2ELNS1_3repE0EEENS1_38merge_mergepath_config_static_selectorELNS0_4arch9wavefront6targetE1EEEvSN_
	.p2align	8
	.type	_ZN7rocprim17ROCPRIM_400000_NS6detail17trampoline_kernelINS0_14default_configENS1_38merge_sort_block_merge_config_selectorIN6thrust23THRUST_200600_302600_NS5tupleIffNS6_9null_typeES8_S8_S8_S8_S8_S8_S8_EENS0_10empty_typeEEEZZNS1_27merge_sort_block_merge_implIS3_NS6_6detail15normal_iteratorINS6_10device_ptrIS9_EEEEPSA_mNS6_4lessIS9_EEEE10hipError_tT0_T1_T2_jT3_P12ihipStream_tbPNSt15iterator_traitsISM_E10value_typeEPNSS_ISN_E10value_typeEPSO_NS1_7vsmem_tEENKUlT_SM_SN_SO_E_clISH_PS9_SI_SI_EESL_S11_SM_SN_SO_EUlS11_E0_NS1_11comp_targetILNS1_3genE8ELNS1_11target_archE1030ELNS1_3gpuE2ELNS1_3repE0EEENS1_38merge_mergepath_config_static_selectorELNS0_4arch9wavefront6targetE1EEEvSN_,@function
_ZN7rocprim17ROCPRIM_400000_NS6detail17trampoline_kernelINS0_14default_configENS1_38merge_sort_block_merge_config_selectorIN6thrust23THRUST_200600_302600_NS5tupleIffNS6_9null_typeES8_S8_S8_S8_S8_S8_S8_EENS0_10empty_typeEEEZZNS1_27merge_sort_block_merge_implIS3_NS6_6detail15normal_iteratorINS6_10device_ptrIS9_EEEEPSA_mNS6_4lessIS9_EEEE10hipError_tT0_T1_T2_jT3_P12ihipStream_tbPNSt15iterator_traitsISM_E10value_typeEPNSS_ISN_E10value_typeEPSO_NS1_7vsmem_tEENKUlT_SM_SN_SO_E_clISH_PS9_SI_SI_EESL_S11_SM_SN_SO_EUlS11_E0_NS1_11comp_targetILNS1_3genE8ELNS1_11target_archE1030ELNS1_3gpuE2ELNS1_3repE0EEENS1_38merge_mergepath_config_static_selectorELNS0_4arch9wavefront6targetE1EEEvSN_: ; @_ZN7rocprim17ROCPRIM_400000_NS6detail17trampoline_kernelINS0_14default_configENS1_38merge_sort_block_merge_config_selectorIN6thrust23THRUST_200600_302600_NS5tupleIffNS6_9null_typeES8_S8_S8_S8_S8_S8_S8_EENS0_10empty_typeEEEZZNS1_27merge_sort_block_merge_implIS3_NS6_6detail15normal_iteratorINS6_10device_ptrIS9_EEEEPSA_mNS6_4lessIS9_EEEE10hipError_tT0_T1_T2_jT3_P12ihipStream_tbPNSt15iterator_traitsISM_E10value_typeEPNSS_ISN_E10value_typeEPSO_NS1_7vsmem_tEENKUlT_SM_SN_SO_E_clISH_PS9_SI_SI_EESL_S11_SM_SN_SO_EUlS11_E0_NS1_11comp_targetILNS1_3genE8ELNS1_11target_archE1030ELNS1_3gpuE2ELNS1_3repE0EEENS1_38merge_mergepath_config_static_selectorELNS0_4arch9wavefront6targetE1EEEvSN_
; %bb.0:
	.section	.rodata,"a",@progbits
	.p2align	6, 0x0
	.amdhsa_kernel _ZN7rocprim17ROCPRIM_400000_NS6detail17trampoline_kernelINS0_14default_configENS1_38merge_sort_block_merge_config_selectorIN6thrust23THRUST_200600_302600_NS5tupleIffNS6_9null_typeES8_S8_S8_S8_S8_S8_S8_EENS0_10empty_typeEEEZZNS1_27merge_sort_block_merge_implIS3_NS6_6detail15normal_iteratorINS6_10device_ptrIS9_EEEEPSA_mNS6_4lessIS9_EEEE10hipError_tT0_T1_T2_jT3_P12ihipStream_tbPNSt15iterator_traitsISM_E10value_typeEPNSS_ISN_E10value_typeEPSO_NS1_7vsmem_tEENKUlT_SM_SN_SO_E_clISH_PS9_SI_SI_EESL_S11_SM_SN_SO_EUlS11_E0_NS1_11comp_targetILNS1_3genE8ELNS1_11target_archE1030ELNS1_3gpuE2ELNS1_3repE0EEENS1_38merge_mergepath_config_static_selectorELNS0_4arch9wavefront6targetE1EEEvSN_
		.amdhsa_group_segment_fixed_size 0
		.amdhsa_private_segment_fixed_size 0
		.amdhsa_kernarg_size 72
		.amdhsa_user_sgpr_count 2
		.amdhsa_user_sgpr_dispatch_ptr 0
		.amdhsa_user_sgpr_queue_ptr 0
		.amdhsa_user_sgpr_kernarg_segment_ptr 1
		.amdhsa_user_sgpr_dispatch_id 0
		.amdhsa_user_sgpr_kernarg_preload_length 0
		.amdhsa_user_sgpr_kernarg_preload_offset 0
		.amdhsa_user_sgpr_private_segment_size 0
		.amdhsa_uses_dynamic_stack 0
		.amdhsa_enable_private_segment 0
		.amdhsa_system_sgpr_workgroup_id_x 1
		.amdhsa_system_sgpr_workgroup_id_y 0
		.amdhsa_system_sgpr_workgroup_id_z 0
		.amdhsa_system_sgpr_workgroup_info 0
		.amdhsa_system_vgpr_workitem_id 0
		.amdhsa_next_free_vgpr 1
		.amdhsa_next_free_sgpr 0
		.amdhsa_accum_offset 4
		.amdhsa_reserve_vcc 0
		.amdhsa_float_round_mode_32 0
		.amdhsa_float_round_mode_16_64 0
		.amdhsa_float_denorm_mode_32 3
		.amdhsa_float_denorm_mode_16_64 3
		.amdhsa_dx10_clamp 1
		.amdhsa_ieee_mode 1
		.amdhsa_fp16_overflow 0
		.amdhsa_tg_split 0
		.amdhsa_exception_fp_ieee_invalid_op 0
		.amdhsa_exception_fp_denorm_src 0
		.amdhsa_exception_fp_ieee_div_zero 0
		.amdhsa_exception_fp_ieee_overflow 0
		.amdhsa_exception_fp_ieee_underflow 0
		.amdhsa_exception_fp_ieee_inexact 0
		.amdhsa_exception_int_div_zero 0
	.end_amdhsa_kernel
	.section	.text._ZN7rocprim17ROCPRIM_400000_NS6detail17trampoline_kernelINS0_14default_configENS1_38merge_sort_block_merge_config_selectorIN6thrust23THRUST_200600_302600_NS5tupleIffNS6_9null_typeES8_S8_S8_S8_S8_S8_S8_EENS0_10empty_typeEEEZZNS1_27merge_sort_block_merge_implIS3_NS6_6detail15normal_iteratorINS6_10device_ptrIS9_EEEEPSA_mNS6_4lessIS9_EEEE10hipError_tT0_T1_T2_jT3_P12ihipStream_tbPNSt15iterator_traitsISM_E10value_typeEPNSS_ISN_E10value_typeEPSO_NS1_7vsmem_tEENKUlT_SM_SN_SO_E_clISH_PS9_SI_SI_EESL_S11_SM_SN_SO_EUlS11_E0_NS1_11comp_targetILNS1_3genE8ELNS1_11target_archE1030ELNS1_3gpuE2ELNS1_3repE0EEENS1_38merge_mergepath_config_static_selectorELNS0_4arch9wavefront6targetE1EEEvSN_,"axG",@progbits,_ZN7rocprim17ROCPRIM_400000_NS6detail17trampoline_kernelINS0_14default_configENS1_38merge_sort_block_merge_config_selectorIN6thrust23THRUST_200600_302600_NS5tupleIffNS6_9null_typeES8_S8_S8_S8_S8_S8_S8_EENS0_10empty_typeEEEZZNS1_27merge_sort_block_merge_implIS3_NS6_6detail15normal_iteratorINS6_10device_ptrIS9_EEEEPSA_mNS6_4lessIS9_EEEE10hipError_tT0_T1_T2_jT3_P12ihipStream_tbPNSt15iterator_traitsISM_E10value_typeEPNSS_ISN_E10value_typeEPSO_NS1_7vsmem_tEENKUlT_SM_SN_SO_E_clISH_PS9_SI_SI_EESL_S11_SM_SN_SO_EUlS11_E0_NS1_11comp_targetILNS1_3genE8ELNS1_11target_archE1030ELNS1_3gpuE2ELNS1_3repE0EEENS1_38merge_mergepath_config_static_selectorELNS0_4arch9wavefront6targetE1EEEvSN_,comdat
.Lfunc_end66:
	.size	_ZN7rocprim17ROCPRIM_400000_NS6detail17trampoline_kernelINS0_14default_configENS1_38merge_sort_block_merge_config_selectorIN6thrust23THRUST_200600_302600_NS5tupleIffNS6_9null_typeES8_S8_S8_S8_S8_S8_S8_EENS0_10empty_typeEEEZZNS1_27merge_sort_block_merge_implIS3_NS6_6detail15normal_iteratorINS6_10device_ptrIS9_EEEEPSA_mNS6_4lessIS9_EEEE10hipError_tT0_T1_T2_jT3_P12ihipStream_tbPNSt15iterator_traitsISM_E10value_typeEPNSS_ISN_E10value_typeEPSO_NS1_7vsmem_tEENKUlT_SM_SN_SO_E_clISH_PS9_SI_SI_EESL_S11_SM_SN_SO_EUlS11_E0_NS1_11comp_targetILNS1_3genE8ELNS1_11target_archE1030ELNS1_3gpuE2ELNS1_3repE0EEENS1_38merge_mergepath_config_static_selectorELNS0_4arch9wavefront6targetE1EEEvSN_, .Lfunc_end66-_ZN7rocprim17ROCPRIM_400000_NS6detail17trampoline_kernelINS0_14default_configENS1_38merge_sort_block_merge_config_selectorIN6thrust23THRUST_200600_302600_NS5tupleIffNS6_9null_typeES8_S8_S8_S8_S8_S8_S8_EENS0_10empty_typeEEEZZNS1_27merge_sort_block_merge_implIS3_NS6_6detail15normal_iteratorINS6_10device_ptrIS9_EEEEPSA_mNS6_4lessIS9_EEEE10hipError_tT0_T1_T2_jT3_P12ihipStream_tbPNSt15iterator_traitsISM_E10value_typeEPNSS_ISN_E10value_typeEPSO_NS1_7vsmem_tEENKUlT_SM_SN_SO_E_clISH_PS9_SI_SI_EESL_S11_SM_SN_SO_EUlS11_E0_NS1_11comp_targetILNS1_3genE8ELNS1_11target_archE1030ELNS1_3gpuE2ELNS1_3repE0EEENS1_38merge_mergepath_config_static_selectorELNS0_4arch9wavefront6targetE1EEEvSN_
                                        ; -- End function
	.section	.AMDGPU.csdata,"",@progbits
; Kernel info:
; codeLenInByte = 0
; NumSgprs: 6
; NumVgprs: 0
; NumAgprs: 0
; TotalNumVgprs: 0
; ScratchSize: 0
; MemoryBound: 0
; FloatMode: 240
; IeeeMode: 1
; LDSByteSize: 0 bytes/workgroup (compile time only)
; SGPRBlocks: 0
; VGPRBlocks: 0
; NumSGPRsForWavesPerEU: 6
; NumVGPRsForWavesPerEU: 1
; AccumOffset: 4
; Occupancy: 8
; WaveLimiterHint : 0
; COMPUTE_PGM_RSRC2:SCRATCH_EN: 0
; COMPUTE_PGM_RSRC2:USER_SGPR: 2
; COMPUTE_PGM_RSRC2:TRAP_HANDLER: 0
; COMPUTE_PGM_RSRC2:TGID_X_EN: 1
; COMPUTE_PGM_RSRC2:TGID_Y_EN: 0
; COMPUTE_PGM_RSRC2:TGID_Z_EN: 0
; COMPUTE_PGM_RSRC2:TIDIG_COMP_CNT: 0
; COMPUTE_PGM_RSRC3_GFX90A:ACCUM_OFFSET: 0
; COMPUTE_PGM_RSRC3_GFX90A:TG_SPLIT: 0
	.section	.text._ZN7rocprim17ROCPRIM_400000_NS6detail17trampoline_kernelINS0_14default_configENS1_38merge_sort_block_merge_config_selectorIN6thrust23THRUST_200600_302600_NS5tupleIffNS6_9null_typeES8_S8_S8_S8_S8_S8_S8_EENS0_10empty_typeEEEZZNS1_27merge_sort_block_merge_implIS3_NS6_6detail15normal_iteratorINS6_10device_ptrIS9_EEEEPSA_mNS6_4lessIS9_EEEE10hipError_tT0_T1_T2_jT3_P12ihipStream_tbPNSt15iterator_traitsISM_E10value_typeEPNSS_ISN_E10value_typeEPSO_NS1_7vsmem_tEENKUlT_SM_SN_SO_E_clISH_PS9_SI_SI_EESL_S11_SM_SN_SO_EUlS11_E1_NS1_11comp_targetILNS1_3genE0ELNS1_11target_archE4294967295ELNS1_3gpuE0ELNS1_3repE0EEENS1_36merge_oddeven_config_static_selectorELNS0_4arch9wavefront6targetE1EEEvSN_,"axG",@progbits,_ZN7rocprim17ROCPRIM_400000_NS6detail17trampoline_kernelINS0_14default_configENS1_38merge_sort_block_merge_config_selectorIN6thrust23THRUST_200600_302600_NS5tupleIffNS6_9null_typeES8_S8_S8_S8_S8_S8_S8_EENS0_10empty_typeEEEZZNS1_27merge_sort_block_merge_implIS3_NS6_6detail15normal_iteratorINS6_10device_ptrIS9_EEEEPSA_mNS6_4lessIS9_EEEE10hipError_tT0_T1_T2_jT3_P12ihipStream_tbPNSt15iterator_traitsISM_E10value_typeEPNSS_ISN_E10value_typeEPSO_NS1_7vsmem_tEENKUlT_SM_SN_SO_E_clISH_PS9_SI_SI_EESL_S11_SM_SN_SO_EUlS11_E1_NS1_11comp_targetILNS1_3genE0ELNS1_11target_archE4294967295ELNS1_3gpuE0ELNS1_3repE0EEENS1_36merge_oddeven_config_static_selectorELNS0_4arch9wavefront6targetE1EEEvSN_,comdat
	.protected	_ZN7rocprim17ROCPRIM_400000_NS6detail17trampoline_kernelINS0_14default_configENS1_38merge_sort_block_merge_config_selectorIN6thrust23THRUST_200600_302600_NS5tupleIffNS6_9null_typeES8_S8_S8_S8_S8_S8_S8_EENS0_10empty_typeEEEZZNS1_27merge_sort_block_merge_implIS3_NS6_6detail15normal_iteratorINS6_10device_ptrIS9_EEEEPSA_mNS6_4lessIS9_EEEE10hipError_tT0_T1_T2_jT3_P12ihipStream_tbPNSt15iterator_traitsISM_E10value_typeEPNSS_ISN_E10value_typeEPSO_NS1_7vsmem_tEENKUlT_SM_SN_SO_E_clISH_PS9_SI_SI_EESL_S11_SM_SN_SO_EUlS11_E1_NS1_11comp_targetILNS1_3genE0ELNS1_11target_archE4294967295ELNS1_3gpuE0ELNS1_3repE0EEENS1_36merge_oddeven_config_static_selectorELNS0_4arch9wavefront6targetE1EEEvSN_ ; -- Begin function _ZN7rocprim17ROCPRIM_400000_NS6detail17trampoline_kernelINS0_14default_configENS1_38merge_sort_block_merge_config_selectorIN6thrust23THRUST_200600_302600_NS5tupleIffNS6_9null_typeES8_S8_S8_S8_S8_S8_S8_EENS0_10empty_typeEEEZZNS1_27merge_sort_block_merge_implIS3_NS6_6detail15normal_iteratorINS6_10device_ptrIS9_EEEEPSA_mNS6_4lessIS9_EEEE10hipError_tT0_T1_T2_jT3_P12ihipStream_tbPNSt15iterator_traitsISM_E10value_typeEPNSS_ISN_E10value_typeEPSO_NS1_7vsmem_tEENKUlT_SM_SN_SO_E_clISH_PS9_SI_SI_EESL_S11_SM_SN_SO_EUlS11_E1_NS1_11comp_targetILNS1_3genE0ELNS1_11target_archE4294967295ELNS1_3gpuE0ELNS1_3repE0EEENS1_36merge_oddeven_config_static_selectorELNS0_4arch9wavefront6targetE1EEEvSN_
	.globl	_ZN7rocprim17ROCPRIM_400000_NS6detail17trampoline_kernelINS0_14default_configENS1_38merge_sort_block_merge_config_selectorIN6thrust23THRUST_200600_302600_NS5tupleIffNS6_9null_typeES8_S8_S8_S8_S8_S8_S8_EENS0_10empty_typeEEEZZNS1_27merge_sort_block_merge_implIS3_NS6_6detail15normal_iteratorINS6_10device_ptrIS9_EEEEPSA_mNS6_4lessIS9_EEEE10hipError_tT0_T1_T2_jT3_P12ihipStream_tbPNSt15iterator_traitsISM_E10value_typeEPNSS_ISN_E10value_typeEPSO_NS1_7vsmem_tEENKUlT_SM_SN_SO_E_clISH_PS9_SI_SI_EESL_S11_SM_SN_SO_EUlS11_E1_NS1_11comp_targetILNS1_3genE0ELNS1_11target_archE4294967295ELNS1_3gpuE0ELNS1_3repE0EEENS1_36merge_oddeven_config_static_selectorELNS0_4arch9wavefront6targetE1EEEvSN_
	.p2align	8
	.type	_ZN7rocprim17ROCPRIM_400000_NS6detail17trampoline_kernelINS0_14default_configENS1_38merge_sort_block_merge_config_selectorIN6thrust23THRUST_200600_302600_NS5tupleIffNS6_9null_typeES8_S8_S8_S8_S8_S8_S8_EENS0_10empty_typeEEEZZNS1_27merge_sort_block_merge_implIS3_NS6_6detail15normal_iteratorINS6_10device_ptrIS9_EEEEPSA_mNS6_4lessIS9_EEEE10hipError_tT0_T1_T2_jT3_P12ihipStream_tbPNSt15iterator_traitsISM_E10value_typeEPNSS_ISN_E10value_typeEPSO_NS1_7vsmem_tEENKUlT_SM_SN_SO_E_clISH_PS9_SI_SI_EESL_S11_SM_SN_SO_EUlS11_E1_NS1_11comp_targetILNS1_3genE0ELNS1_11target_archE4294967295ELNS1_3gpuE0ELNS1_3repE0EEENS1_36merge_oddeven_config_static_selectorELNS0_4arch9wavefront6targetE1EEEvSN_,@function
_ZN7rocprim17ROCPRIM_400000_NS6detail17trampoline_kernelINS0_14default_configENS1_38merge_sort_block_merge_config_selectorIN6thrust23THRUST_200600_302600_NS5tupleIffNS6_9null_typeES8_S8_S8_S8_S8_S8_S8_EENS0_10empty_typeEEEZZNS1_27merge_sort_block_merge_implIS3_NS6_6detail15normal_iteratorINS6_10device_ptrIS9_EEEEPSA_mNS6_4lessIS9_EEEE10hipError_tT0_T1_T2_jT3_P12ihipStream_tbPNSt15iterator_traitsISM_E10value_typeEPNSS_ISN_E10value_typeEPSO_NS1_7vsmem_tEENKUlT_SM_SN_SO_E_clISH_PS9_SI_SI_EESL_S11_SM_SN_SO_EUlS11_E1_NS1_11comp_targetILNS1_3genE0ELNS1_11target_archE4294967295ELNS1_3gpuE0ELNS1_3repE0EEENS1_36merge_oddeven_config_static_selectorELNS0_4arch9wavefront6targetE1EEEvSN_: ; @_ZN7rocprim17ROCPRIM_400000_NS6detail17trampoline_kernelINS0_14default_configENS1_38merge_sort_block_merge_config_selectorIN6thrust23THRUST_200600_302600_NS5tupleIffNS6_9null_typeES8_S8_S8_S8_S8_S8_S8_EENS0_10empty_typeEEEZZNS1_27merge_sort_block_merge_implIS3_NS6_6detail15normal_iteratorINS6_10device_ptrIS9_EEEEPSA_mNS6_4lessIS9_EEEE10hipError_tT0_T1_T2_jT3_P12ihipStream_tbPNSt15iterator_traitsISM_E10value_typeEPNSS_ISN_E10value_typeEPSO_NS1_7vsmem_tEENKUlT_SM_SN_SO_E_clISH_PS9_SI_SI_EESL_S11_SM_SN_SO_EUlS11_E1_NS1_11comp_targetILNS1_3genE0ELNS1_11target_archE4294967295ELNS1_3gpuE0ELNS1_3repE0EEENS1_36merge_oddeven_config_static_selectorELNS0_4arch9wavefront6targetE1EEEvSN_
; %bb.0:
	.section	.rodata,"a",@progbits
	.p2align	6, 0x0
	.amdhsa_kernel _ZN7rocprim17ROCPRIM_400000_NS6detail17trampoline_kernelINS0_14default_configENS1_38merge_sort_block_merge_config_selectorIN6thrust23THRUST_200600_302600_NS5tupleIffNS6_9null_typeES8_S8_S8_S8_S8_S8_S8_EENS0_10empty_typeEEEZZNS1_27merge_sort_block_merge_implIS3_NS6_6detail15normal_iteratorINS6_10device_ptrIS9_EEEEPSA_mNS6_4lessIS9_EEEE10hipError_tT0_T1_T2_jT3_P12ihipStream_tbPNSt15iterator_traitsISM_E10value_typeEPNSS_ISN_E10value_typeEPSO_NS1_7vsmem_tEENKUlT_SM_SN_SO_E_clISH_PS9_SI_SI_EESL_S11_SM_SN_SO_EUlS11_E1_NS1_11comp_targetILNS1_3genE0ELNS1_11target_archE4294967295ELNS1_3gpuE0ELNS1_3repE0EEENS1_36merge_oddeven_config_static_selectorELNS0_4arch9wavefront6targetE1EEEvSN_
		.amdhsa_group_segment_fixed_size 0
		.amdhsa_private_segment_fixed_size 0
		.amdhsa_kernarg_size 56
		.amdhsa_user_sgpr_count 2
		.amdhsa_user_sgpr_dispatch_ptr 0
		.amdhsa_user_sgpr_queue_ptr 0
		.amdhsa_user_sgpr_kernarg_segment_ptr 1
		.amdhsa_user_sgpr_dispatch_id 0
		.amdhsa_user_sgpr_kernarg_preload_length 0
		.amdhsa_user_sgpr_kernarg_preload_offset 0
		.amdhsa_user_sgpr_private_segment_size 0
		.amdhsa_uses_dynamic_stack 0
		.amdhsa_enable_private_segment 0
		.amdhsa_system_sgpr_workgroup_id_x 1
		.amdhsa_system_sgpr_workgroup_id_y 0
		.amdhsa_system_sgpr_workgroup_id_z 0
		.amdhsa_system_sgpr_workgroup_info 0
		.amdhsa_system_vgpr_workitem_id 0
		.amdhsa_next_free_vgpr 1
		.amdhsa_next_free_sgpr 0
		.amdhsa_accum_offset 4
		.amdhsa_reserve_vcc 0
		.amdhsa_float_round_mode_32 0
		.amdhsa_float_round_mode_16_64 0
		.amdhsa_float_denorm_mode_32 3
		.amdhsa_float_denorm_mode_16_64 3
		.amdhsa_dx10_clamp 1
		.amdhsa_ieee_mode 1
		.amdhsa_fp16_overflow 0
		.amdhsa_tg_split 0
		.amdhsa_exception_fp_ieee_invalid_op 0
		.amdhsa_exception_fp_denorm_src 0
		.amdhsa_exception_fp_ieee_div_zero 0
		.amdhsa_exception_fp_ieee_overflow 0
		.amdhsa_exception_fp_ieee_underflow 0
		.amdhsa_exception_fp_ieee_inexact 0
		.amdhsa_exception_int_div_zero 0
	.end_amdhsa_kernel
	.section	.text._ZN7rocprim17ROCPRIM_400000_NS6detail17trampoline_kernelINS0_14default_configENS1_38merge_sort_block_merge_config_selectorIN6thrust23THRUST_200600_302600_NS5tupleIffNS6_9null_typeES8_S8_S8_S8_S8_S8_S8_EENS0_10empty_typeEEEZZNS1_27merge_sort_block_merge_implIS3_NS6_6detail15normal_iteratorINS6_10device_ptrIS9_EEEEPSA_mNS6_4lessIS9_EEEE10hipError_tT0_T1_T2_jT3_P12ihipStream_tbPNSt15iterator_traitsISM_E10value_typeEPNSS_ISN_E10value_typeEPSO_NS1_7vsmem_tEENKUlT_SM_SN_SO_E_clISH_PS9_SI_SI_EESL_S11_SM_SN_SO_EUlS11_E1_NS1_11comp_targetILNS1_3genE0ELNS1_11target_archE4294967295ELNS1_3gpuE0ELNS1_3repE0EEENS1_36merge_oddeven_config_static_selectorELNS0_4arch9wavefront6targetE1EEEvSN_,"axG",@progbits,_ZN7rocprim17ROCPRIM_400000_NS6detail17trampoline_kernelINS0_14default_configENS1_38merge_sort_block_merge_config_selectorIN6thrust23THRUST_200600_302600_NS5tupleIffNS6_9null_typeES8_S8_S8_S8_S8_S8_S8_EENS0_10empty_typeEEEZZNS1_27merge_sort_block_merge_implIS3_NS6_6detail15normal_iteratorINS6_10device_ptrIS9_EEEEPSA_mNS6_4lessIS9_EEEE10hipError_tT0_T1_T2_jT3_P12ihipStream_tbPNSt15iterator_traitsISM_E10value_typeEPNSS_ISN_E10value_typeEPSO_NS1_7vsmem_tEENKUlT_SM_SN_SO_E_clISH_PS9_SI_SI_EESL_S11_SM_SN_SO_EUlS11_E1_NS1_11comp_targetILNS1_3genE0ELNS1_11target_archE4294967295ELNS1_3gpuE0ELNS1_3repE0EEENS1_36merge_oddeven_config_static_selectorELNS0_4arch9wavefront6targetE1EEEvSN_,comdat
.Lfunc_end67:
	.size	_ZN7rocprim17ROCPRIM_400000_NS6detail17trampoline_kernelINS0_14default_configENS1_38merge_sort_block_merge_config_selectorIN6thrust23THRUST_200600_302600_NS5tupleIffNS6_9null_typeES8_S8_S8_S8_S8_S8_S8_EENS0_10empty_typeEEEZZNS1_27merge_sort_block_merge_implIS3_NS6_6detail15normal_iteratorINS6_10device_ptrIS9_EEEEPSA_mNS6_4lessIS9_EEEE10hipError_tT0_T1_T2_jT3_P12ihipStream_tbPNSt15iterator_traitsISM_E10value_typeEPNSS_ISN_E10value_typeEPSO_NS1_7vsmem_tEENKUlT_SM_SN_SO_E_clISH_PS9_SI_SI_EESL_S11_SM_SN_SO_EUlS11_E1_NS1_11comp_targetILNS1_3genE0ELNS1_11target_archE4294967295ELNS1_3gpuE0ELNS1_3repE0EEENS1_36merge_oddeven_config_static_selectorELNS0_4arch9wavefront6targetE1EEEvSN_, .Lfunc_end67-_ZN7rocprim17ROCPRIM_400000_NS6detail17trampoline_kernelINS0_14default_configENS1_38merge_sort_block_merge_config_selectorIN6thrust23THRUST_200600_302600_NS5tupleIffNS6_9null_typeES8_S8_S8_S8_S8_S8_S8_EENS0_10empty_typeEEEZZNS1_27merge_sort_block_merge_implIS3_NS6_6detail15normal_iteratorINS6_10device_ptrIS9_EEEEPSA_mNS6_4lessIS9_EEEE10hipError_tT0_T1_T2_jT3_P12ihipStream_tbPNSt15iterator_traitsISM_E10value_typeEPNSS_ISN_E10value_typeEPSO_NS1_7vsmem_tEENKUlT_SM_SN_SO_E_clISH_PS9_SI_SI_EESL_S11_SM_SN_SO_EUlS11_E1_NS1_11comp_targetILNS1_3genE0ELNS1_11target_archE4294967295ELNS1_3gpuE0ELNS1_3repE0EEENS1_36merge_oddeven_config_static_selectorELNS0_4arch9wavefront6targetE1EEEvSN_
                                        ; -- End function
	.section	.AMDGPU.csdata,"",@progbits
; Kernel info:
; codeLenInByte = 0
; NumSgprs: 6
; NumVgprs: 0
; NumAgprs: 0
; TotalNumVgprs: 0
; ScratchSize: 0
; MemoryBound: 0
; FloatMode: 240
; IeeeMode: 1
; LDSByteSize: 0 bytes/workgroup (compile time only)
; SGPRBlocks: 0
; VGPRBlocks: 0
; NumSGPRsForWavesPerEU: 6
; NumVGPRsForWavesPerEU: 1
; AccumOffset: 4
; Occupancy: 8
; WaveLimiterHint : 0
; COMPUTE_PGM_RSRC2:SCRATCH_EN: 0
; COMPUTE_PGM_RSRC2:USER_SGPR: 2
; COMPUTE_PGM_RSRC2:TRAP_HANDLER: 0
; COMPUTE_PGM_RSRC2:TGID_X_EN: 1
; COMPUTE_PGM_RSRC2:TGID_Y_EN: 0
; COMPUTE_PGM_RSRC2:TGID_Z_EN: 0
; COMPUTE_PGM_RSRC2:TIDIG_COMP_CNT: 0
; COMPUTE_PGM_RSRC3_GFX90A:ACCUM_OFFSET: 0
; COMPUTE_PGM_RSRC3_GFX90A:TG_SPLIT: 0
	.section	.text._ZN7rocprim17ROCPRIM_400000_NS6detail17trampoline_kernelINS0_14default_configENS1_38merge_sort_block_merge_config_selectorIN6thrust23THRUST_200600_302600_NS5tupleIffNS6_9null_typeES8_S8_S8_S8_S8_S8_S8_EENS0_10empty_typeEEEZZNS1_27merge_sort_block_merge_implIS3_NS6_6detail15normal_iteratorINS6_10device_ptrIS9_EEEEPSA_mNS6_4lessIS9_EEEE10hipError_tT0_T1_T2_jT3_P12ihipStream_tbPNSt15iterator_traitsISM_E10value_typeEPNSS_ISN_E10value_typeEPSO_NS1_7vsmem_tEENKUlT_SM_SN_SO_E_clISH_PS9_SI_SI_EESL_S11_SM_SN_SO_EUlS11_E1_NS1_11comp_targetILNS1_3genE10ELNS1_11target_archE1201ELNS1_3gpuE5ELNS1_3repE0EEENS1_36merge_oddeven_config_static_selectorELNS0_4arch9wavefront6targetE1EEEvSN_,"axG",@progbits,_ZN7rocprim17ROCPRIM_400000_NS6detail17trampoline_kernelINS0_14default_configENS1_38merge_sort_block_merge_config_selectorIN6thrust23THRUST_200600_302600_NS5tupleIffNS6_9null_typeES8_S8_S8_S8_S8_S8_S8_EENS0_10empty_typeEEEZZNS1_27merge_sort_block_merge_implIS3_NS6_6detail15normal_iteratorINS6_10device_ptrIS9_EEEEPSA_mNS6_4lessIS9_EEEE10hipError_tT0_T1_T2_jT3_P12ihipStream_tbPNSt15iterator_traitsISM_E10value_typeEPNSS_ISN_E10value_typeEPSO_NS1_7vsmem_tEENKUlT_SM_SN_SO_E_clISH_PS9_SI_SI_EESL_S11_SM_SN_SO_EUlS11_E1_NS1_11comp_targetILNS1_3genE10ELNS1_11target_archE1201ELNS1_3gpuE5ELNS1_3repE0EEENS1_36merge_oddeven_config_static_selectorELNS0_4arch9wavefront6targetE1EEEvSN_,comdat
	.protected	_ZN7rocprim17ROCPRIM_400000_NS6detail17trampoline_kernelINS0_14default_configENS1_38merge_sort_block_merge_config_selectorIN6thrust23THRUST_200600_302600_NS5tupleIffNS6_9null_typeES8_S8_S8_S8_S8_S8_S8_EENS0_10empty_typeEEEZZNS1_27merge_sort_block_merge_implIS3_NS6_6detail15normal_iteratorINS6_10device_ptrIS9_EEEEPSA_mNS6_4lessIS9_EEEE10hipError_tT0_T1_T2_jT3_P12ihipStream_tbPNSt15iterator_traitsISM_E10value_typeEPNSS_ISN_E10value_typeEPSO_NS1_7vsmem_tEENKUlT_SM_SN_SO_E_clISH_PS9_SI_SI_EESL_S11_SM_SN_SO_EUlS11_E1_NS1_11comp_targetILNS1_3genE10ELNS1_11target_archE1201ELNS1_3gpuE5ELNS1_3repE0EEENS1_36merge_oddeven_config_static_selectorELNS0_4arch9wavefront6targetE1EEEvSN_ ; -- Begin function _ZN7rocprim17ROCPRIM_400000_NS6detail17trampoline_kernelINS0_14default_configENS1_38merge_sort_block_merge_config_selectorIN6thrust23THRUST_200600_302600_NS5tupleIffNS6_9null_typeES8_S8_S8_S8_S8_S8_S8_EENS0_10empty_typeEEEZZNS1_27merge_sort_block_merge_implIS3_NS6_6detail15normal_iteratorINS6_10device_ptrIS9_EEEEPSA_mNS6_4lessIS9_EEEE10hipError_tT0_T1_T2_jT3_P12ihipStream_tbPNSt15iterator_traitsISM_E10value_typeEPNSS_ISN_E10value_typeEPSO_NS1_7vsmem_tEENKUlT_SM_SN_SO_E_clISH_PS9_SI_SI_EESL_S11_SM_SN_SO_EUlS11_E1_NS1_11comp_targetILNS1_3genE10ELNS1_11target_archE1201ELNS1_3gpuE5ELNS1_3repE0EEENS1_36merge_oddeven_config_static_selectorELNS0_4arch9wavefront6targetE1EEEvSN_
	.globl	_ZN7rocprim17ROCPRIM_400000_NS6detail17trampoline_kernelINS0_14default_configENS1_38merge_sort_block_merge_config_selectorIN6thrust23THRUST_200600_302600_NS5tupleIffNS6_9null_typeES8_S8_S8_S8_S8_S8_S8_EENS0_10empty_typeEEEZZNS1_27merge_sort_block_merge_implIS3_NS6_6detail15normal_iteratorINS6_10device_ptrIS9_EEEEPSA_mNS6_4lessIS9_EEEE10hipError_tT0_T1_T2_jT3_P12ihipStream_tbPNSt15iterator_traitsISM_E10value_typeEPNSS_ISN_E10value_typeEPSO_NS1_7vsmem_tEENKUlT_SM_SN_SO_E_clISH_PS9_SI_SI_EESL_S11_SM_SN_SO_EUlS11_E1_NS1_11comp_targetILNS1_3genE10ELNS1_11target_archE1201ELNS1_3gpuE5ELNS1_3repE0EEENS1_36merge_oddeven_config_static_selectorELNS0_4arch9wavefront6targetE1EEEvSN_
	.p2align	8
	.type	_ZN7rocprim17ROCPRIM_400000_NS6detail17trampoline_kernelINS0_14default_configENS1_38merge_sort_block_merge_config_selectorIN6thrust23THRUST_200600_302600_NS5tupleIffNS6_9null_typeES8_S8_S8_S8_S8_S8_S8_EENS0_10empty_typeEEEZZNS1_27merge_sort_block_merge_implIS3_NS6_6detail15normal_iteratorINS6_10device_ptrIS9_EEEEPSA_mNS6_4lessIS9_EEEE10hipError_tT0_T1_T2_jT3_P12ihipStream_tbPNSt15iterator_traitsISM_E10value_typeEPNSS_ISN_E10value_typeEPSO_NS1_7vsmem_tEENKUlT_SM_SN_SO_E_clISH_PS9_SI_SI_EESL_S11_SM_SN_SO_EUlS11_E1_NS1_11comp_targetILNS1_3genE10ELNS1_11target_archE1201ELNS1_3gpuE5ELNS1_3repE0EEENS1_36merge_oddeven_config_static_selectorELNS0_4arch9wavefront6targetE1EEEvSN_,@function
_ZN7rocprim17ROCPRIM_400000_NS6detail17trampoline_kernelINS0_14default_configENS1_38merge_sort_block_merge_config_selectorIN6thrust23THRUST_200600_302600_NS5tupleIffNS6_9null_typeES8_S8_S8_S8_S8_S8_S8_EENS0_10empty_typeEEEZZNS1_27merge_sort_block_merge_implIS3_NS6_6detail15normal_iteratorINS6_10device_ptrIS9_EEEEPSA_mNS6_4lessIS9_EEEE10hipError_tT0_T1_T2_jT3_P12ihipStream_tbPNSt15iterator_traitsISM_E10value_typeEPNSS_ISN_E10value_typeEPSO_NS1_7vsmem_tEENKUlT_SM_SN_SO_E_clISH_PS9_SI_SI_EESL_S11_SM_SN_SO_EUlS11_E1_NS1_11comp_targetILNS1_3genE10ELNS1_11target_archE1201ELNS1_3gpuE5ELNS1_3repE0EEENS1_36merge_oddeven_config_static_selectorELNS0_4arch9wavefront6targetE1EEEvSN_: ; @_ZN7rocprim17ROCPRIM_400000_NS6detail17trampoline_kernelINS0_14default_configENS1_38merge_sort_block_merge_config_selectorIN6thrust23THRUST_200600_302600_NS5tupleIffNS6_9null_typeES8_S8_S8_S8_S8_S8_S8_EENS0_10empty_typeEEEZZNS1_27merge_sort_block_merge_implIS3_NS6_6detail15normal_iteratorINS6_10device_ptrIS9_EEEEPSA_mNS6_4lessIS9_EEEE10hipError_tT0_T1_T2_jT3_P12ihipStream_tbPNSt15iterator_traitsISM_E10value_typeEPNSS_ISN_E10value_typeEPSO_NS1_7vsmem_tEENKUlT_SM_SN_SO_E_clISH_PS9_SI_SI_EESL_S11_SM_SN_SO_EUlS11_E1_NS1_11comp_targetILNS1_3genE10ELNS1_11target_archE1201ELNS1_3gpuE5ELNS1_3repE0EEENS1_36merge_oddeven_config_static_selectorELNS0_4arch9wavefront6targetE1EEEvSN_
; %bb.0:
	.section	.rodata,"a",@progbits
	.p2align	6, 0x0
	.amdhsa_kernel _ZN7rocprim17ROCPRIM_400000_NS6detail17trampoline_kernelINS0_14default_configENS1_38merge_sort_block_merge_config_selectorIN6thrust23THRUST_200600_302600_NS5tupleIffNS6_9null_typeES8_S8_S8_S8_S8_S8_S8_EENS0_10empty_typeEEEZZNS1_27merge_sort_block_merge_implIS3_NS6_6detail15normal_iteratorINS6_10device_ptrIS9_EEEEPSA_mNS6_4lessIS9_EEEE10hipError_tT0_T1_T2_jT3_P12ihipStream_tbPNSt15iterator_traitsISM_E10value_typeEPNSS_ISN_E10value_typeEPSO_NS1_7vsmem_tEENKUlT_SM_SN_SO_E_clISH_PS9_SI_SI_EESL_S11_SM_SN_SO_EUlS11_E1_NS1_11comp_targetILNS1_3genE10ELNS1_11target_archE1201ELNS1_3gpuE5ELNS1_3repE0EEENS1_36merge_oddeven_config_static_selectorELNS0_4arch9wavefront6targetE1EEEvSN_
		.amdhsa_group_segment_fixed_size 0
		.amdhsa_private_segment_fixed_size 0
		.amdhsa_kernarg_size 56
		.amdhsa_user_sgpr_count 2
		.amdhsa_user_sgpr_dispatch_ptr 0
		.amdhsa_user_sgpr_queue_ptr 0
		.amdhsa_user_sgpr_kernarg_segment_ptr 1
		.amdhsa_user_sgpr_dispatch_id 0
		.amdhsa_user_sgpr_kernarg_preload_length 0
		.amdhsa_user_sgpr_kernarg_preload_offset 0
		.amdhsa_user_sgpr_private_segment_size 0
		.amdhsa_uses_dynamic_stack 0
		.amdhsa_enable_private_segment 0
		.amdhsa_system_sgpr_workgroup_id_x 1
		.amdhsa_system_sgpr_workgroup_id_y 0
		.amdhsa_system_sgpr_workgroup_id_z 0
		.amdhsa_system_sgpr_workgroup_info 0
		.amdhsa_system_vgpr_workitem_id 0
		.amdhsa_next_free_vgpr 1
		.amdhsa_next_free_sgpr 0
		.amdhsa_accum_offset 4
		.amdhsa_reserve_vcc 0
		.amdhsa_float_round_mode_32 0
		.amdhsa_float_round_mode_16_64 0
		.amdhsa_float_denorm_mode_32 3
		.amdhsa_float_denorm_mode_16_64 3
		.amdhsa_dx10_clamp 1
		.amdhsa_ieee_mode 1
		.amdhsa_fp16_overflow 0
		.amdhsa_tg_split 0
		.amdhsa_exception_fp_ieee_invalid_op 0
		.amdhsa_exception_fp_denorm_src 0
		.amdhsa_exception_fp_ieee_div_zero 0
		.amdhsa_exception_fp_ieee_overflow 0
		.amdhsa_exception_fp_ieee_underflow 0
		.amdhsa_exception_fp_ieee_inexact 0
		.amdhsa_exception_int_div_zero 0
	.end_amdhsa_kernel
	.section	.text._ZN7rocprim17ROCPRIM_400000_NS6detail17trampoline_kernelINS0_14default_configENS1_38merge_sort_block_merge_config_selectorIN6thrust23THRUST_200600_302600_NS5tupleIffNS6_9null_typeES8_S8_S8_S8_S8_S8_S8_EENS0_10empty_typeEEEZZNS1_27merge_sort_block_merge_implIS3_NS6_6detail15normal_iteratorINS6_10device_ptrIS9_EEEEPSA_mNS6_4lessIS9_EEEE10hipError_tT0_T1_T2_jT3_P12ihipStream_tbPNSt15iterator_traitsISM_E10value_typeEPNSS_ISN_E10value_typeEPSO_NS1_7vsmem_tEENKUlT_SM_SN_SO_E_clISH_PS9_SI_SI_EESL_S11_SM_SN_SO_EUlS11_E1_NS1_11comp_targetILNS1_3genE10ELNS1_11target_archE1201ELNS1_3gpuE5ELNS1_3repE0EEENS1_36merge_oddeven_config_static_selectorELNS0_4arch9wavefront6targetE1EEEvSN_,"axG",@progbits,_ZN7rocprim17ROCPRIM_400000_NS6detail17trampoline_kernelINS0_14default_configENS1_38merge_sort_block_merge_config_selectorIN6thrust23THRUST_200600_302600_NS5tupleIffNS6_9null_typeES8_S8_S8_S8_S8_S8_S8_EENS0_10empty_typeEEEZZNS1_27merge_sort_block_merge_implIS3_NS6_6detail15normal_iteratorINS6_10device_ptrIS9_EEEEPSA_mNS6_4lessIS9_EEEE10hipError_tT0_T1_T2_jT3_P12ihipStream_tbPNSt15iterator_traitsISM_E10value_typeEPNSS_ISN_E10value_typeEPSO_NS1_7vsmem_tEENKUlT_SM_SN_SO_E_clISH_PS9_SI_SI_EESL_S11_SM_SN_SO_EUlS11_E1_NS1_11comp_targetILNS1_3genE10ELNS1_11target_archE1201ELNS1_3gpuE5ELNS1_3repE0EEENS1_36merge_oddeven_config_static_selectorELNS0_4arch9wavefront6targetE1EEEvSN_,comdat
.Lfunc_end68:
	.size	_ZN7rocprim17ROCPRIM_400000_NS6detail17trampoline_kernelINS0_14default_configENS1_38merge_sort_block_merge_config_selectorIN6thrust23THRUST_200600_302600_NS5tupleIffNS6_9null_typeES8_S8_S8_S8_S8_S8_S8_EENS0_10empty_typeEEEZZNS1_27merge_sort_block_merge_implIS3_NS6_6detail15normal_iteratorINS6_10device_ptrIS9_EEEEPSA_mNS6_4lessIS9_EEEE10hipError_tT0_T1_T2_jT3_P12ihipStream_tbPNSt15iterator_traitsISM_E10value_typeEPNSS_ISN_E10value_typeEPSO_NS1_7vsmem_tEENKUlT_SM_SN_SO_E_clISH_PS9_SI_SI_EESL_S11_SM_SN_SO_EUlS11_E1_NS1_11comp_targetILNS1_3genE10ELNS1_11target_archE1201ELNS1_3gpuE5ELNS1_3repE0EEENS1_36merge_oddeven_config_static_selectorELNS0_4arch9wavefront6targetE1EEEvSN_, .Lfunc_end68-_ZN7rocprim17ROCPRIM_400000_NS6detail17trampoline_kernelINS0_14default_configENS1_38merge_sort_block_merge_config_selectorIN6thrust23THRUST_200600_302600_NS5tupleIffNS6_9null_typeES8_S8_S8_S8_S8_S8_S8_EENS0_10empty_typeEEEZZNS1_27merge_sort_block_merge_implIS3_NS6_6detail15normal_iteratorINS6_10device_ptrIS9_EEEEPSA_mNS6_4lessIS9_EEEE10hipError_tT0_T1_T2_jT3_P12ihipStream_tbPNSt15iterator_traitsISM_E10value_typeEPNSS_ISN_E10value_typeEPSO_NS1_7vsmem_tEENKUlT_SM_SN_SO_E_clISH_PS9_SI_SI_EESL_S11_SM_SN_SO_EUlS11_E1_NS1_11comp_targetILNS1_3genE10ELNS1_11target_archE1201ELNS1_3gpuE5ELNS1_3repE0EEENS1_36merge_oddeven_config_static_selectorELNS0_4arch9wavefront6targetE1EEEvSN_
                                        ; -- End function
	.section	.AMDGPU.csdata,"",@progbits
; Kernel info:
; codeLenInByte = 0
; NumSgprs: 6
; NumVgprs: 0
; NumAgprs: 0
; TotalNumVgprs: 0
; ScratchSize: 0
; MemoryBound: 0
; FloatMode: 240
; IeeeMode: 1
; LDSByteSize: 0 bytes/workgroup (compile time only)
; SGPRBlocks: 0
; VGPRBlocks: 0
; NumSGPRsForWavesPerEU: 6
; NumVGPRsForWavesPerEU: 1
; AccumOffset: 4
; Occupancy: 8
; WaveLimiterHint : 0
; COMPUTE_PGM_RSRC2:SCRATCH_EN: 0
; COMPUTE_PGM_RSRC2:USER_SGPR: 2
; COMPUTE_PGM_RSRC2:TRAP_HANDLER: 0
; COMPUTE_PGM_RSRC2:TGID_X_EN: 1
; COMPUTE_PGM_RSRC2:TGID_Y_EN: 0
; COMPUTE_PGM_RSRC2:TGID_Z_EN: 0
; COMPUTE_PGM_RSRC2:TIDIG_COMP_CNT: 0
; COMPUTE_PGM_RSRC3_GFX90A:ACCUM_OFFSET: 0
; COMPUTE_PGM_RSRC3_GFX90A:TG_SPLIT: 0
	.section	.text._ZN7rocprim17ROCPRIM_400000_NS6detail17trampoline_kernelINS0_14default_configENS1_38merge_sort_block_merge_config_selectorIN6thrust23THRUST_200600_302600_NS5tupleIffNS6_9null_typeES8_S8_S8_S8_S8_S8_S8_EENS0_10empty_typeEEEZZNS1_27merge_sort_block_merge_implIS3_NS6_6detail15normal_iteratorINS6_10device_ptrIS9_EEEEPSA_mNS6_4lessIS9_EEEE10hipError_tT0_T1_T2_jT3_P12ihipStream_tbPNSt15iterator_traitsISM_E10value_typeEPNSS_ISN_E10value_typeEPSO_NS1_7vsmem_tEENKUlT_SM_SN_SO_E_clISH_PS9_SI_SI_EESL_S11_SM_SN_SO_EUlS11_E1_NS1_11comp_targetILNS1_3genE5ELNS1_11target_archE942ELNS1_3gpuE9ELNS1_3repE0EEENS1_36merge_oddeven_config_static_selectorELNS0_4arch9wavefront6targetE1EEEvSN_,"axG",@progbits,_ZN7rocprim17ROCPRIM_400000_NS6detail17trampoline_kernelINS0_14default_configENS1_38merge_sort_block_merge_config_selectorIN6thrust23THRUST_200600_302600_NS5tupleIffNS6_9null_typeES8_S8_S8_S8_S8_S8_S8_EENS0_10empty_typeEEEZZNS1_27merge_sort_block_merge_implIS3_NS6_6detail15normal_iteratorINS6_10device_ptrIS9_EEEEPSA_mNS6_4lessIS9_EEEE10hipError_tT0_T1_T2_jT3_P12ihipStream_tbPNSt15iterator_traitsISM_E10value_typeEPNSS_ISN_E10value_typeEPSO_NS1_7vsmem_tEENKUlT_SM_SN_SO_E_clISH_PS9_SI_SI_EESL_S11_SM_SN_SO_EUlS11_E1_NS1_11comp_targetILNS1_3genE5ELNS1_11target_archE942ELNS1_3gpuE9ELNS1_3repE0EEENS1_36merge_oddeven_config_static_selectorELNS0_4arch9wavefront6targetE1EEEvSN_,comdat
	.protected	_ZN7rocprim17ROCPRIM_400000_NS6detail17trampoline_kernelINS0_14default_configENS1_38merge_sort_block_merge_config_selectorIN6thrust23THRUST_200600_302600_NS5tupleIffNS6_9null_typeES8_S8_S8_S8_S8_S8_S8_EENS0_10empty_typeEEEZZNS1_27merge_sort_block_merge_implIS3_NS6_6detail15normal_iteratorINS6_10device_ptrIS9_EEEEPSA_mNS6_4lessIS9_EEEE10hipError_tT0_T1_T2_jT3_P12ihipStream_tbPNSt15iterator_traitsISM_E10value_typeEPNSS_ISN_E10value_typeEPSO_NS1_7vsmem_tEENKUlT_SM_SN_SO_E_clISH_PS9_SI_SI_EESL_S11_SM_SN_SO_EUlS11_E1_NS1_11comp_targetILNS1_3genE5ELNS1_11target_archE942ELNS1_3gpuE9ELNS1_3repE0EEENS1_36merge_oddeven_config_static_selectorELNS0_4arch9wavefront6targetE1EEEvSN_ ; -- Begin function _ZN7rocprim17ROCPRIM_400000_NS6detail17trampoline_kernelINS0_14default_configENS1_38merge_sort_block_merge_config_selectorIN6thrust23THRUST_200600_302600_NS5tupleIffNS6_9null_typeES8_S8_S8_S8_S8_S8_S8_EENS0_10empty_typeEEEZZNS1_27merge_sort_block_merge_implIS3_NS6_6detail15normal_iteratorINS6_10device_ptrIS9_EEEEPSA_mNS6_4lessIS9_EEEE10hipError_tT0_T1_T2_jT3_P12ihipStream_tbPNSt15iterator_traitsISM_E10value_typeEPNSS_ISN_E10value_typeEPSO_NS1_7vsmem_tEENKUlT_SM_SN_SO_E_clISH_PS9_SI_SI_EESL_S11_SM_SN_SO_EUlS11_E1_NS1_11comp_targetILNS1_3genE5ELNS1_11target_archE942ELNS1_3gpuE9ELNS1_3repE0EEENS1_36merge_oddeven_config_static_selectorELNS0_4arch9wavefront6targetE1EEEvSN_
	.globl	_ZN7rocprim17ROCPRIM_400000_NS6detail17trampoline_kernelINS0_14default_configENS1_38merge_sort_block_merge_config_selectorIN6thrust23THRUST_200600_302600_NS5tupleIffNS6_9null_typeES8_S8_S8_S8_S8_S8_S8_EENS0_10empty_typeEEEZZNS1_27merge_sort_block_merge_implIS3_NS6_6detail15normal_iteratorINS6_10device_ptrIS9_EEEEPSA_mNS6_4lessIS9_EEEE10hipError_tT0_T1_T2_jT3_P12ihipStream_tbPNSt15iterator_traitsISM_E10value_typeEPNSS_ISN_E10value_typeEPSO_NS1_7vsmem_tEENKUlT_SM_SN_SO_E_clISH_PS9_SI_SI_EESL_S11_SM_SN_SO_EUlS11_E1_NS1_11comp_targetILNS1_3genE5ELNS1_11target_archE942ELNS1_3gpuE9ELNS1_3repE0EEENS1_36merge_oddeven_config_static_selectorELNS0_4arch9wavefront6targetE1EEEvSN_
	.p2align	8
	.type	_ZN7rocprim17ROCPRIM_400000_NS6detail17trampoline_kernelINS0_14default_configENS1_38merge_sort_block_merge_config_selectorIN6thrust23THRUST_200600_302600_NS5tupleIffNS6_9null_typeES8_S8_S8_S8_S8_S8_S8_EENS0_10empty_typeEEEZZNS1_27merge_sort_block_merge_implIS3_NS6_6detail15normal_iteratorINS6_10device_ptrIS9_EEEEPSA_mNS6_4lessIS9_EEEE10hipError_tT0_T1_T2_jT3_P12ihipStream_tbPNSt15iterator_traitsISM_E10value_typeEPNSS_ISN_E10value_typeEPSO_NS1_7vsmem_tEENKUlT_SM_SN_SO_E_clISH_PS9_SI_SI_EESL_S11_SM_SN_SO_EUlS11_E1_NS1_11comp_targetILNS1_3genE5ELNS1_11target_archE942ELNS1_3gpuE9ELNS1_3repE0EEENS1_36merge_oddeven_config_static_selectorELNS0_4arch9wavefront6targetE1EEEvSN_,@function
_ZN7rocprim17ROCPRIM_400000_NS6detail17trampoline_kernelINS0_14default_configENS1_38merge_sort_block_merge_config_selectorIN6thrust23THRUST_200600_302600_NS5tupleIffNS6_9null_typeES8_S8_S8_S8_S8_S8_S8_EENS0_10empty_typeEEEZZNS1_27merge_sort_block_merge_implIS3_NS6_6detail15normal_iteratorINS6_10device_ptrIS9_EEEEPSA_mNS6_4lessIS9_EEEE10hipError_tT0_T1_T2_jT3_P12ihipStream_tbPNSt15iterator_traitsISM_E10value_typeEPNSS_ISN_E10value_typeEPSO_NS1_7vsmem_tEENKUlT_SM_SN_SO_E_clISH_PS9_SI_SI_EESL_S11_SM_SN_SO_EUlS11_E1_NS1_11comp_targetILNS1_3genE5ELNS1_11target_archE942ELNS1_3gpuE9ELNS1_3repE0EEENS1_36merge_oddeven_config_static_selectorELNS0_4arch9wavefront6targetE1EEEvSN_: ; @_ZN7rocprim17ROCPRIM_400000_NS6detail17trampoline_kernelINS0_14default_configENS1_38merge_sort_block_merge_config_selectorIN6thrust23THRUST_200600_302600_NS5tupleIffNS6_9null_typeES8_S8_S8_S8_S8_S8_S8_EENS0_10empty_typeEEEZZNS1_27merge_sort_block_merge_implIS3_NS6_6detail15normal_iteratorINS6_10device_ptrIS9_EEEEPSA_mNS6_4lessIS9_EEEE10hipError_tT0_T1_T2_jT3_P12ihipStream_tbPNSt15iterator_traitsISM_E10value_typeEPNSS_ISN_E10value_typeEPSO_NS1_7vsmem_tEENKUlT_SM_SN_SO_E_clISH_PS9_SI_SI_EESL_S11_SM_SN_SO_EUlS11_E1_NS1_11comp_targetILNS1_3genE5ELNS1_11target_archE942ELNS1_3gpuE9ELNS1_3repE0EEENS1_36merge_oddeven_config_static_selectorELNS0_4arch9wavefront6targetE1EEEvSN_
; %bb.0:
	s_load_dword s16, s[0:1], 0x20
	s_lshl_b32 s6, s2, 8
	s_waitcnt lgkmcnt(0)
	s_lshr_b32 s3, s16, 8
	s_cmp_lg_u32 s2, s3
	s_cselect_b64 s[8:9], -1, 0
	s_cmp_eq_u32 s2, s3
	s_cselect_b64 s[12:13], -1, 0
	s_sub_i32 s3, s16, s6
	v_cmp_gt_u32_e64 s[4:5], s3, v0
	s_or_b64 s[8:9], s[8:9], s[4:5]
	s_and_saveexec_b64 s[10:11], s[8:9]
	s_cbranch_execz .LBB69_50
; %bb.1:
	s_load_dwordx4 s[8:11], s[0:1], 0x0
	s_load_dword s17, s[0:1], 0x28
	s_mov_b32 s7, 0
	s_lshl_b64 s[0:1], s[6:7], 3
	v_lshlrev_b32_e32 v1, 3, v0
	s_waitcnt lgkmcnt(0)
	s_add_u32 s0, s8, s0
	s_addc_u32 s1, s9, s1
	global_load_dwordx2 v[2:3], v1, s[0:1]
	s_lshr_b32 s0, s17, 8
	s_sub_i32 s1, 0, s0
	s_and_b32 s1, s2, s1
	s_and_b32 s0, s1, s0
	s_cmp_lg_u32 s0, 0
	s_cselect_b64 s[2:3], -1, 0
	s_lshl_b32 s18, s1, 8
	s_sub_i32 s1, 0, s17
	s_cmp_eq_u32 s0, 0
	s_cselect_b32 s20, s17, s1
	s_add_i32 s20, s20, s18
	s_cmp_lt_u32 s20, s16
	v_add_u32_e32 v4, s6, v0
	s_cbranch_scc1 .LBB69_6
; %bb.2:
	s_and_b64 vcc, exec, s[12:13]
	s_cbranch_vccz .LBB69_7
; %bb.3:
	v_cmp_gt_u32_e32 vcc, s16, v4
	s_mov_b64 s[0:1], 0
	s_mov_b64 s[6:7], 0
                                        ; implicit-def: $vgpr0_vgpr1
	s_and_saveexec_b64 s[14:15], vcc
	s_cbranch_execz .LBB69_5
; %bb.4:
	v_mov_b32_e32 v5, 0
	v_lshl_add_u64 v[6:7], v[4:5], 3, s[10:11]
	s_mov_b64 s[6:7], exec
	v_lshl_add_u64 v[0:1], v[6:7], 0, 4
	s_waitcnt vmcnt(0)
	global_store_dword v[6:7], v2, off
.LBB69_5:
	s_or_b64 exec, exec, s[14:15]
	s_and_b64 vcc, exec, s[0:1]
	s_cbranch_vccnz .LBB69_8
	s_branch .LBB69_9
.LBB69_6:
	s_mov_b64 s[6:7], 0
                                        ; implicit-def: $vgpr0_vgpr1
	s_cbranch_execnz .LBB69_10
	s_branch .LBB69_48
.LBB69_7:
	s_mov_b64 s[6:7], 0
                                        ; implicit-def: $vgpr0_vgpr1
	s_cbranch_execz .LBB69_9
.LBB69_8:
	v_mov_b32_e32 v5, 0
	v_lshl_add_u64 v[0:1], v[4:5], 3, s[10:11]
	s_waitcnt vmcnt(0)
	global_store_dword v[0:1], v2, off
	v_lshl_add_u64 v[0:1], v[0:1], 0, 4
	s_or_b64 s[6:7], s[6:7], exec
.LBB69_9:
	s_branch .LBB69_48
.LBB69_10:
	s_min_u32 s21, s20, s16
	s_add_i32 s0, s21, s17
	s_min_u32 s22, s0, s16
	s_min_u32 s0, s18, s21
	s_add_i32 s18, s18, s21
	v_subrev_u32_e32 v0, s18, v4
	v_add_u32_e32 v6, s0, v0
	s_and_b64 vcc, exec, s[12:13]
	s_cbranch_vccz .LBB69_27
; %bb.11:
                                        ; implicit-def: $vgpr0_vgpr1
	s_and_saveexec_b64 s[12:13], s[4:5]
	s_cbranch_execz .LBB69_30
; %bb.12:
	s_cmp_ge_u32 s20, s22
	v_mov_b32_e32 v7, s21
	s_cbranch_scc1 .LBB69_29
; %bb.13:
	v_cndmask_b32_e64 v0, 0, 1, s[2:3]
	s_mov_b64 s[4:5], 0
	v_mov_b32_e32 v8, s22
	v_mov_b32_e32 v7, s21
	;; [unrolled: 1-line block ×3, first 2 shown]
	v_cmp_ne_u32_e64 s[0:1], 1, v0
	s_branch .LBB69_17
.LBB69_14:                              ;   in Loop: Header=BB69_17 Depth=1
	s_or_b64 exec, exec, s[18:19]
	s_orn2_b64 s[14:15], s[14:15], exec
.LBB69_15:                              ;   in Loop: Header=BB69_17 Depth=1
	s_or_b64 exec, exec, s[16:17]
.LBB69_16:                              ;   in Loop: Header=BB69_17 Depth=1
	s_waitcnt vmcnt(0)
	v_add_u32_e32 v4, 1, v0
	v_cndmask_b32_e64 v8, v0, v8, s[14:15]
	v_cndmask_b32_e64 v7, v7, v4, s[14:15]
	v_cmp_ge_u32_e32 vcc, v7, v8
	s_or_b64 s[4:5], vcc, s[4:5]
	s_andn2_b64 exec, exec, s[4:5]
	s_cbranch_execz .LBB69_28
.LBB69_17:                              ; =>This Inner Loop Header: Depth=1
	v_add_u32_e32 v0, v7, v8
	v_lshrrev_b32_e32 v0, 1, v0
	v_lshl_add_u64 v[4:5], v[0:1], 3, s[8:9]
	global_load_dwordx2 v[4:5], v[4:5], off
	s_and_b64 vcc, exec, s[0:1]
	s_mov_b64 s[16:17], -1
                                        ; implicit-def: $sgpr14_sgpr15
	s_cbranch_vccnz .LBB69_23
; %bb.18:                               ;   in Loop: Header=BB69_17 Depth=1
	s_waitcnt vmcnt(0)
	v_cmp_nlt_f32_e32 vcc, v2, v4
	s_and_saveexec_b64 s[14:15], vcc
	s_cbranch_execz .LBB69_22
; %bb.19:                               ;   in Loop: Header=BB69_17 Depth=1
	v_cmp_nlt_f32_e32 vcc, v4, v2
	s_mov_b64 s[16:17], 0
	s_and_saveexec_b64 s[18:19], vcc
; %bb.20:                               ;   in Loop: Header=BB69_17 Depth=1
	v_cmp_lt_f32_e32 vcc, v3, v5
	s_and_b64 s[16:17], vcc, exec
; %bb.21:                               ;   in Loop: Header=BB69_17 Depth=1
	s_or_b64 exec, exec, s[18:19]
	s_orn2_b64 s[16:17], s[16:17], exec
.LBB69_22:                              ;   in Loop: Header=BB69_17 Depth=1
	s_or_b64 exec, exec, s[14:15]
	s_xor_b64 s[14:15], s[16:17], -1
	s_mov_b64 s[16:17], 0
.LBB69_23:                              ;   in Loop: Header=BB69_17 Depth=1
	s_and_b64 vcc, exec, s[16:17]
	s_cbranch_vccz .LBB69_16
; %bb.24:                               ;   in Loop: Header=BB69_17 Depth=1
	s_waitcnt vmcnt(0)
	v_cmp_nlt_f32_e32 vcc, v4, v2
	s_mov_b64 s[14:15], -1
	s_and_saveexec_b64 s[16:17], vcc
	s_cbranch_execz .LBB69_15
; %bb.25:                               ;   in Loop: Header=BB69_17 Depth=1
	v_cmp_nlt_f32_e32 vcc, v2, v4
	s_mov_b64 s[14:15], 0
	s_and_saveexec_b64 s[18:19], vcc
	s_cbranch_execz .LBB69_14
; %bb.26:                               ;   in Loop: Header=BB69_17 Depth=1
	v_cmp_lt_f32_e32 vcc, v5, v3
	s_and_b64 s[14:15], vcc, exec
	s_branch .LBB69_14
.LBB69_27:
                                        ; implicit-def: $vgpr0_vgpr1
	s_cbranch_execnz .LBB69_31
	s_branch .LBB69_48
.LBB69_28:
	s_or_b64 exec, exec, s[4:5]
.LBB69_29:
	v_add_u32_e32 v0, v7, v6
	v_mov_b32_e32 v1, 0
	v_lshl_add_u64 v[0:1], v[0:1], 3, s[10:11]
	s_waitcnt vmcnt(0)
	global_store_dword v[0:1], v2, off
	v_lshl_add_u64 v[0:1], v[0:1], 0, 4
	s_or_b64 s[6:7], s[6:7], exec
.LBB69_30:
	s_or_b64 exec, exec, s[12:13]
	s_branch .LBB69_48
.LBB69_31:
	s_cmp_ge_u32 s20, s22
	v_mov_b32_e32 v7, s21
	s_cbranch_scc1 .LBB69_47
; %bb.32:
	v_cndmask_b32_e64 v0, 0, 1, s[2:3]
	s_mov_b64 s[4:5], 0
	v_mov_b32_e32 v8, s22
	v_mov_b32_e32 v7, s21
	;; [unrolled: 1-line block ×3, first 2 shown]
	v_cmp_ne_u32_e64 s[0:1], 1, v0
	s_branch .LBB69_36
.LBB69_33:                              ;   in Loop: Header=BB69_36 Depth=1
	s_or_b64 exec, exec, s[12:13]
	s_orn2_b64 s[2:3], s[2:3], exec
.LBB69_34:                              ;   in Loop: Header=BB69_36 Depth=1
	s_or_b64 exec, exec, s[6:7]
.LBB69_35:                              ;   in Loop: Header=BB69_36 Depth=1
	s_waitcnt vmcnt(0)
	v_add_u32_e32 v4, 1, v0
	v_cndmask_b32_e64 v8, v0, v8, s[2:3]
	v_cndmask_b32_e64 v7, v7, v4, s[2:3]
	v_cmp_ge_u32_e32 vcc, v7, v8
	s_or_b64 s[4:5], vcc, s[4:5]
	s_andn2_b64 exec, exec, s[4:5]
	s_cbranch_execz .LBB69_46
.LBB69_36:                              ; =>This Inner Loop Header: Depth=1
	v_add_u32_e32 v0, v7, v8
	v_lshrrev_b32_e32 v0, 1, v0
	v_lshl_add_u64 v[4:5], v[0:1], 3, s[8:9]
	global_load_dwordx2 v[4:5], v[4:5], off
	s_and_b64 vcc, exec, s[0:1]
	s_mov_b64 s[6:7], -1
                                        ; implicit-def: $sgpr2_sgpr3
	s_cbranch_vccnz .LBB69_42
; %bb.37:                               ;   in Loop: Header=BB69_36 Depth=1
	s_waitcnt vmcnt(0)
	v_cmp_nlt_f32_e32 vcc, v2, v4
	s_and_saveexec_b64 s[2:3], vcc
	s_cbranch_execz .LBB69_41
; %bb.38:                               ;   in Loop: Header=BB69_36 Depth=1
	v_cmp_nlt_f32_e32 vcc, v4, v2
	s_mov_b64 s[6:7], 0
	s_and_saveexec_b64 s[12:13], vcc
; %bb.39:                               ;   in Loop: Header=BB69_36 Depth=1
	v_cmp_lt_f32_e32 vcc, v3, v5
	s_and_b64 s[6:7], vcc, exec
; %bb.40:                               ;   in Loop: Header=BB69_36 Depth=1
	s_or_b64 exec, exec, s[12:13]
	s_orn2_b64 s[6:7], s[6:7], exec
.LBB69_41:                              ;   in Loop: Header=BB69_36 Depth=1
	s_or_b64 exec, exec, s[2:3]
	s_xor_b64 s[2:3], s[6:7], -1
	s_mov_b64 s[6:7], 0
.LBB69_42:                              ;   in Loop: Header=BB69_36 Depth=1
	s_and_b64 vcc, exec, s[6:7]
	s_cbranch_vccz .LBB69_35
; %bb.43:                               ;   in Loop: Header=BB69_36 Depth=1
	s_waitcnt vmcnt(0)
	v_cmp_nlt_f32_e32 vcc, v4, v2
	s_mov_b64 s[2:3], -1
	s_and_saveexec_b64 s[6:7], vcc
	s_cbranch_execz .LBB69_34
; %bb.44:                               ;   in Loop: Header=BB69_36 Depth=1
	v_cmp_nlt_f32_e32 vcc, v2, v4
	s_mov_b64 s[2:3], 0
	s_and_saveexec_b64 s[12:13], vcc
	s_cbranch_execz .LBB69_33
; %bb.45:                               ;   in Loop: Header=BB69_36 Depth=1
	v_cmp_lt_f32_e32 vcc, v5, v3
	s_and_b64 s[2:3], vcc, exec
	s_branch .LBB69_33
.LBB69_46:
	s_or_b64 exec, exec, s[4:5]
.LBB69_47:
	v_add_u32_e32 v0, v7, v6
	v_mov_b32_e32 v1, 0
	v_lshl_add_u64 v[0:1], v[0:1], 3, s[10:11]
	s_waitcnt vmcnt(0)
	global_store_dword v[0:1], v2, off
	v_lshl_add_u64 v[0:1], v[0:1], 0, 4
	s_mov_b64 s[6:7], -1
.LBB69_48:
	s_and_b64 exec, exec, s[6:7]
	s_cbranch_execz .LBB69_50
; %bb.49:
	s_waitcnt vmcnt(0)
	global_store_dword v[0:1], v3, off
.LBB69_50:
	s_endpgm
	.section	.rodata,"a",@progbits
	.p2align	6, 0x0
	.amdhsa_kernel _ZN7rocprim17ROCPRIM_400000_NS6detail17trampoline_kernelINS0_14default_configENS1_38merge_sort_block_merge_config_selectorIN6thrust23THRUST_200600_302600_NS5tupleIffNS6_9null_typeES8_S8_S8_S8_S8_S8_S8_EENS0_10empty_typeEEEZZNS1_27merge_sort_block_merge_implIS3_NS6_6detail15normal_iteratorINS6_10device_ptrIS9_EEEEPSA_mNS6_4lessIS9_EEEE10hipError_tT0_T1_T2_jT3_P12ihipStream_tbPNSt15iterator_traitsISM_E10value_typeEPNSS_ISN_E10value_typeEPSO_NS1_7vsmem_tEENKUlT_SM_SN_SO_E_clISH_PS9_SI_SI_EESL_S11_SM_SN_SO_EUlS11_E1_NS1_11comp_targetILNS1_3genE5ELNS1_11target_archE942ELNS1_3gpuE9ELNS1_3repE0EEENS1_36merge_oddeven_config_static_selectorELNS0_4arch9wavefront6targetE1EEEvSN_
		.amdhsa_group_segment_fixed_size 0
		.amdhsa_private_segment_fixed_size 0
		.amdhsa_kernarg_size 56
		.amdhsa_user_sgpr_count 2
		.amdhsa_user_sgpr_dispatch_ptr 0
		.amdhsa_user_sgpr_queue_ptr 0
		.amdhsa_user_sgpr_kernarg_segment_ptr 1
		.amdhsa_user_sgpr_dispatch_id 0
		.amdhsa_user_sgpr_kernarg_preload_length 0
		.amdhsa_user_sgpr_kernarg_preload_offset 0
		.amdhsa_user_sgpr_private_segment_size 0
		.amdhsa_uses_dynamic_stack 0
		.amdhsa_enable_private_segment 0
		.amdhsa_system_sgpr_workgroup_id_x 1
		.amdhsa_system_sgpr_workgroup_id_y 0
		.amdhsa_system_sgpr_workgroup_id_z 0
		.amdhsa_system_sgpr_workgroup_info 0
		.amdhsa_system_vgpr_workitem_id 0
		.amdhsa_next_free_vgpr 9
		.amdhsa_next_free_sgpr 23
		.amdhsa_accum_offset 12
		.amdhsa_reserve_vcc 1
		.amdhsa_float_round_mode_32 0
		.amdhsa_float_round_mode_16_64 0
		.amdhsa_float_denorm_mode_32 3
		.amdhsa_float_denorm_mode_16_64 3
		.amdhsa_dx10_clamp 1
		.amdhsa_ieee_mode 1
		.amdhsa_fp16_overflow 0
		.amdhsa_tg_split 0
		.amdhsa_exception_fp_ieee_invalid_op 0
		.amdhsa_exception_fp_denorm_src 0
		.amdhsa_exception_fp_ieee_div_zero 0
		.amdhsa_exception_fp_ieee_overflow 0
		.amdhsa_exception_fp_ieee_underflow 0
		.amdhsa_exception_fp_ieee_inexact 0
		.amdhsa_exception_int_div_zero 0
	.end_amdhsa_kernel
	.section	.text._ZN7rocprim17ROCPRIM_400000_NS6detail17trampoline_kernelINS0_14default_configENS1_38merge_sort_block_merge_config_selectorIN6thrust23THRUST_200600_302600_NS5tupleIffNS6_9null_typeES8_S8_S8_S8_S8_S8_S8_EENS0_10empty_typeEEEZZNS1_27merge_sort_block_merge_implIS3_NS6_6detail15normal_iteratorINS6_10device_ptrIS9_EEEEPSA_mNS6_4lessIS9_EEEE10hipError_tT0_T1_T2_jT3_P12ihipStream_tbPNSt15iterator_traitsISM_E10value_typeEPNSS_ISN_E10value_typeEPSO_NS1_7vsmem_tEENKUlT_SM_SN_SO_E_clISH_PS9_SI_SI_EESL_S11_SM_SN_SO_EUlS11_E1_NS1_11comp_targetILNS1_3genE5ELNS1_11target_archE942ELNS1_3gpuE9ELNS1_3repE0EEENS1_36merge_oddeven_config_static_selectorELNS0_4arch9wavefront6targetE1EEEvSN_,"axG",@progbits,_ZN7rocprim17ROCPRIM_400000_NS6detail17trampoline_kernelINS0_14default_configENS1_38merge_sort_block_merge_config_selectorIN6thrust23THRUST_200600_302600_NS5tupleIffNS6_9null_typeES8_S8_S8_S8_S8_S8_S8_EENS0_10empty_typeEEEZZNS1_27merge_sort_block_merge_implIS3_NS6_6detail15normal_iteratorINS6_10device_ptrIS9_EEEEPSA_mNS6_4lessIS9_EEEE10hipError_tT0_T1_T2_jT3_P12ihipStream_tbPNSt15iterator_traitsISM_E10value_typeEPNSS_ISN_E10value_typeEPSO_NS1_7vsmem_tEENKUlT_SM_SN_SO_E_clISH_PS9_SI_SI_EESL_S11_SM_SN_SO_EUlS11_E1_NS1_11comp_targetILNS1_3genE5ELNS1_11target_archE942ELNS1_3gpuE9ELNS1_3repE0EEENS1_36merge_oddeven_config_static_selectorELNS0_4arch9wavefront6targetE1EEEvSN_,comdat
.Lfunc_end69:
	.size	_ZN7rocprim17ROCPRIM_400000_NS6detail17trampoline_kernelINS0_14default_configENS1_38merge_sort_block_merge_config_selectorIN6thrust23THRUST_200600_302600_NS5tupleIffNS6_9null_typeES8_S8_S8_S8_S8_S8_S8_EENS0_10empty_typeEEEZZNS1_27merge_sort_block_merge_implIS3_NS6_6detail15normal_iteratorINS6_10device_ptrIS9_EEEEPSA_mNS6_4lessIS9_EEEE10hipError_tT0_T1_T2_jT3_P12ihipStream_tbPNSt15iterator_traitsISM_E10value_typeEPNSS_ISN_E10value_typeEPSO_NS1_7vsmem_tEENKUlT_SM_SN_SO_E_clISH_PS9_SI_SI_EESL_S11_SM_SN_SO_EUlS11_E1_NS1_11comp_targetILNS1_3genE5ELNS1_11target_archE942ELNS1_3gpuE9ELNS1_3repE0EEENS1_36merge_oddeven_config_static_selectorELNS0_4arch9wavefront6targetE1EEEvSN_, .Lfunc_end69-_ZN7rocprim17ROCPRIM_400000_NS6detail17trampoline_kernelINS0_14default_configENS1_38merge_sort_block_merge_config_selectorIN6thrust23THRUST_200600_302600_NS5tupleIffNS6_9null_typeES8_S8_S8_S8_S8_S8_S8_EENS0_10empty_typeEEEZZNS1_27merge_sort_block_merge_implIS3_NS6_6detail15normal_iteratorINS6_10device_ptrIS9_EEEEPSA_mNS6_4lessIS9_EEEE10hipError_tT0_T1_T2_jT3_P12ihipStream_tbPNSt15iterator_traitsISM_E10value_typeEPNSS_ISN_E10value_typeEPSO_NS1_7vsmem_tEENKUlT_SM_SN_SO_E_clISH_PS9_SI_SI_EESL_S11_SM_SN_SO_EUlS11_E1_NS1_11comp_targetILNS1_3genE5ELNS1_11target_archE942ELNS1_3gpuE9ELNS1_3repE0EEENS1_36merge_oddeven_config_static_selectorELNS0_4arch9wavefront6targetE1EEEvSN_
                                        ; -- End function
	.section	.AMDGPU.csdata,"",@progbits
; Kernel info:
; codeLenInByte = 972
; NumSgprs: 29
; NumVgprs: 9
; NumAgprs: 0
; TotalNumVgprs: 9
; ScratchSize: 0
; MemoryBound: 0
; FloatMode: 240
; IeeeMode: 1
; LDSByteSize: 0 bytes/workgroup (compile time only)
; SGPRBlocks: 3
; VGPRBlocks: 1
; NumSGPRsForWavesPerEU: 29
; NumVGPRsForWavesPerEU: 9
; AccumOffset: 12
; Occupancy: 8
; WaveLimiterHint : 0
; COMPUTE_PGM_RSRC2:SCRATCH_EN: 0
; COMPUTE_PGM_RSRC2:USER_SGPR: 2
; COMPUTE_PGM_RSRC2:TRAP_HANDLER: 0
; COMPUTE_PGM_RSRC2:TGID_X_EN: 1
; COMPUTE_PGM_RSRC2:TGID_Y_EN: 0
; COMPUTE_PGM_RSRC2:TGID_Z_EN: 0
; COMPUTE_PGM_RSRC2:TIDIG_COMP_CNT: 0
; COMPUTE_PGM_RSRC3_GFX90A:ACCUM_OFFSET: 2
; COMPUTE_PGM_RSRC3_GFX90A:TG_SPLIT: 0
	.section	.text._ZN7rocprim17ROCPRIM_400000_NS6detail17trampoline_kernelINS0_14default_configENS1_38merge_sort_block_merge_config_selectorIN6thrust23THRUST_200600_302600_NS5tupleIffNS6_9null_typeES8_S8_S8_S8_S8_S8_S8_EENS0_10empty_typeEEEZZNS1_27merge_sort_block_merge_implIS3_NS6_6detail15normal_iteratorINS6_10device_ptrIS9_EEEEPSA_mNS6_4lessIS9_EEEE10hipError_tT0_T1_T2_jT3_P12ihipStream_tbPNSt15iterator_traitsISM_E10value_typeEPNSS_ISN_E10value_typeEPSO_NS1_7vsmem_tEENKUlT_SM_SN_SO_E_clISH_PS9_SI_SI_EESL_S11_SM_SN_SO_EUlS11_E1_NS1_11comp_targetILNS1_3genE4ELNS1_11target_archE910ELNS1_3gpuE8ELNS1_3repE0EEENS1_36merge_oddeven_config_static_selectorELNS0_4arch9wavefront6targetE1EEEvSN_,"axG",@progbits,_ZN7rocprim17ROCPRIM_400000_NS6detail17trampoline_kernelINS0_14default_configENS1_38merge_sort_block_merge_config_selectorIN6thrust23THRUST_200600_302600_NS5tupleIffNS6_9null_typeES8_S8_S8_S8_S8_S8_S8_EENS0_10empty_typeEEEZZNS1_27merge_sort_block_merge_implIS3_NS6_6detail15normal_iteratorINS6_10device_ptrIS9_EEEEPSA_mNS6_4lessIS9_EEEE10hipError_tT0_T1_T2_jT3_P12ihipStream_tbPNSt15iterator_traitsISM_E10value_typeEPNSS_ISN_E10value_typeEPSO_NS1_7vsmem_tEENKUlT_SM_SN_SO_E_clISH_PS9_SI_SI_EESL_S11_SM_SN_SO_EUlS11_E1_NS1_11comp_targetILNS1_3genE4ELNS1_11target_archE910ELNS1_3gpuE8ELNS1_3repE0EEENS1_36merge_oddeven_config_static_selectorELNS0_4arch9wavefront6targetE1EEEvSN_,comdat
	.protected	_ZN7rocprim17ROCPRIM_400000_NS6detail17trampoline_kernelINS0_14default_configENS1_38merge_sort_block_merge_config_selectorIN6thrust23THRUST_200600_302600_NS5tupleIffNS6_9null_typeES8_S8_S8_S8_S8_S8_S8_EENS0_10empty_typeEEEZZNS1_27merge_sort_block_merge_implIS3_NS6_6detail15normal_iteratorINS6_10device_ptrIS9_EEEEPSA_mNS6_4lessIS9_EEEE10hipError_tT0_T1_T2_jT3_P12ihipStream_tbPNSt15iterator_traitsISM_E10value_typeEPNSS_ISN_E10value_typeEPSO_NS1_7vsmem_tEENKUlT_SM_SN_SO_E_clISH_PS9_SI_SI_EESL_S11_SM_SN_SO_EUlS11_E1_NS1_11comp_targetILNS1_3genE4ELNS1_11target_archE910ELNS1_3gpuE8ELNS1_3repE0EEENS1_36merge_oddeven_config_static_selectorELNS0_4arch9wavefront6targetE1EEEvSN_ ; -- Begin function _ZN7rocprim17ROCPRIM_400000_NS6detail17trampoline_kernelINS0_14default_configENS1_38merge_sort_block_merge_config_selectorIN6thrust23THRUST_200600_302600_NS5tupleIffNS6_9null_typeES8_S8_S8_S8_S8_S8_S8_EENS0_10empty_typeEEEZZNS1_27merge_sort_block_merge_implIS3_NS6_6detail15normal_iteratorINS6_10device_ptrIS9_EEEEPSA_mNS6_4lessIS9_EEEE10hipError_tT0_T1_T2_jT3_P12ihipStream_tbPNSt15iterator_traitsISM_E10value_typeEPNSS_ISN_E10value_typeEPSO_NS1_7vsmem_tEENKUlT_SM_SN_SO_E_clISH_PS9_SI_SI_EESL_S11_SM_SN_SO_EUlS11_E1_NS1_11comp_targetILNS1_3genE4ELNS1_11target_archE910ELNS1_3gpuE8ELNS1_3repE0EEENS1_36merge_oddeven_config_static_selectorELNS0_4arch9wavefront6targetE1EEEvSN_
	.globl	_ZN7rocprim17ROCPRIM_400000_NS6detail17trampoline_kernelINS0_14default_configENS1_38merge_sort_block_merge_config_selectorIN6thrust23THRUST_200600_302600_NS5tupleIffNS6_9null_typeES8_S8_S8_S8_S8_S8_S8_EENS0_10empty_typeEEEZZNS1_27merge_sort_block_merge_implIS3_NS6_6detail15normal_iteratorINS6_10device_ptrIS9_EEEEPSA_mNS6_4lessIS9_EEEE10hipError_tT0_T1_T2_jT3_P12ihipStream_tbPNSt15iterator_traitsISM_E10value_typeEPNSS_ISN_E10value_typeEPSO_NS1_7vsmem_tEENKUlT_SM_SN_SO_E_clISH_PS9_SI_SI_EESL_S11_SM_SN_SO_EUlS11_E1_NS1_11comp_targetILNS1_3genE4ELNS1_11target_archE910ELNS1_3gpuE8ELNS1_3repE0EEENS1_36merge_oddeven_config_static_selectorELNS0_4arch9wavefront6targetE1EEEvSN_
	.p2align	8
	.type	_ZN7rocprim17ROCPRIM_400000_NS6detail17trampoline_kernelINS0_14default_configENS1_38merge_sort_block_merge_config_selectorIN6thrust23THRUST_200600_302600_NS5tupleIffNS6_9null_typeES8_S8_S8_S8_S8_S8_S8_EENS0_10empty_typeEEEZZNS1_27merge_sort_block_merge_implIS3_NS6_6detail15normal_iteratorINS6_10device_ptrIS9_EEEEPSA_mNS6_4lessIS9_EEEE10hipError_tT0_T1_T2_jT3_P12ihipStream_tbPNSt15iterator_traitsISM_E10value_typeEPNSS_ISN_E10value_typeEPSO_NS1_7vsmem_tEENKUlT_SM_SN_SO_E_clISH_PS9_SI_SI_EESL_S11_SM_SN_SO_EUlS11_E1_NS1_11comp_targetILNS1_3genE4ELNS1_11target_archE910ELNS1_3gpuE8ELNS1_3repE0EEENS1_36merge_oddeven_config_static_selectorELNS0_4arch9wavefront6targetE1EEEvSN_,@function
_ZN7rocprim17ROCPRIM_400000_NS6detail17trampoline_kernelINS0_14default_configENS1_38merge_sort_block_merge_config_selectorIN6thrust23THRUST_200600_302600_NS5tupleIffNS6_9null_typeES8_S8_S8_S8_S8_S8_S8_EENS0_10empty_typeEEEZZNS1_27merge_sort_block_merge_implIS3_NS6_6detail15normal_iteratorINS6_10device_ptrIS9_EEEEPSA_mNS6_4lessIS9_EEEE10hipError_tT0_T1_T2_jT3_P12ihipStream_tbPNSt15iterator_traitsISM_E10value_typeEPNSS_ISN_E10value_typeEPSO_NS1_7vsmem_tEENKUlT_SM_SN_SO_E_clISH_PS9_SI_SI_EESL_S11_SM_SN_SO_EUlS11_E1_NS1_11comp_targetILNS1_3genE4ELNS1_11target_archE910ELNS1_3gpuE8ELNS1_3repE0EEENS1_36merge_oddeven_config_static_selectorELNS0_4arch9wavefront6targetE1EEEvSN_: ; @_ZN7rocprim17ROCPRIM_400000_NS6detail17trampoline_kernelINS0_14default_configENS1_38merge_sort_block_merge_config_selectorIN6thrust23THRUST_200600_302600_NS5tupleIffNS6_9null_typeES8_S8_S8_S8_S8_S8_S8_EENS0_10empty_typeEEEZZNS1_27merge_sort_block_merge_implIS3_NS6_6detail15normal_iteratorINS6_10device_ptrIS9_EEEEPSA_mNS6_4lessIS9_EEEE10hipError_tT0_T1_T2_jT3_P12ihipStream_tbPNSt15iterator_traitsISM_E10value_typeEPNSS_ISN_E10value_typeEPSO_NS1_7vsmem_tEENKUlT_SM_SN_SO_E_clISH_PS9_SI_SI_EESL_S11_SM_SN_SO_EUlS11_E1_NS1_11comp_targetILNS1_3genE4ELNS1_11target_archE910ELNS1_3gpuE8ELNS1_3repE0EEENS1_36merge_oddeven_config_static_selectorELNS0_4arch9wavefront6targetE1EEEvSN_
; %bb.0:
	.section	.rodata,"a",@progbits
	.p2align	6, 0x0
	.amdhsa_kernel _ZN7rocprim17ROCPRIM_400000_NS6detail17trampoline_kernelINS0_14default_configENS1_38merge_sort_block_merge_config_selectorIN6thrust23THRUST_200600_302600_NS5tupleIffNS6_9null_typeES8_S8_S8_S8_S8_S8_S8_EENS0_10empty_typeEEEZZNS1_27merge_sort_block_merge_implIS3_NS6_6detail15normal_iteratorINS6_10device_ptrIS9_EEEEPSA_mNS6_4lessIS9_EEEE10hipError_tT0_T1_T2_jT3_P12ihipStream_tbPNSt15iterator_traitsISM_E10value_typeEPNSS_ISN_E10value_typeEPSO_NS1_7vsmem_tEENKUlT_SM_SN_SO_E_clISH_PS9_SI_SI_EESL_S11_SM_SN_SO_EUlS11_E1_NS1_11comp_targetILNS1_3genE4ELNS1_11target_archE910ELNS1_3gpuE8ELNS1_3repE0EEENS1_36merge_oddeven_config_static_selectorELNS0_4arch9wavefront6targetE1EEEvSN_
		.amdhsa_group_segment_fixed_size 0
		.amdhsa_private_segment_fixed_size 0
		.amdhsa_kernarg_size 56
		.amdhsa_user_sgpr_count 2
		.amdhsa_user_sgpr_dispatch_ptr 0
		.amdhsa_user_sgpr_queue_ptr 0
		.amdhsa_user_sgpr_kernarg_segment_ptr 1
		.amdhsa_user_sgpr_dispatch_id 0
		.amdhsa_user_sgpr_kernarg_preload_length 0
		.amdhsa_user_sgpr_kernarg_preload_offset 0
		.amdhsa_user_sgpr_private_segment_size 0
		.amdhsa_uses_dynamic_stack 0
		.amdhsa_enable_private_segment 0
		.amdhsa_system_sgpr_workgroup_id_x 1
		.amdhsa_system_sgpr_workgroup_id_y 0
		.amdhsa_system_sgpr_workgroup_id_z 0
		.amdhsa_system_sgpr_workgroup_info 0
		.amdhsa_system_vgpr_workitem_id 0
		.amdhsa_next_free_vgpr 1
		.amdhsa_next_free_sgpr 0
		.amdhsa_accum_offset 4
		.amdhsa_reserve_vcc 0
		.amdhsa_float_round_mode_32 0
		.amdhsa_float_round_mode_16_64 0
		.amdhsa_float_denorm_mode_32 3
		.amdhsa_float_denorm_mode_16_64 3
		.amdhsa_dx10_clamp 1
		.amdhsa_ieee_mode 1
		.amdhsa_fp16_overflow 0
		.amdhsa_tg_split 0
		.amdhsa_exception_fp_ieee_invalid_op 0
		.amdhsa_exception_fp_denorm_src 0
		.amdhsa_exception_fp_ieee_div_zero 0
		.amdhsa_exception_fp_ieee_overflow 0
		.amdhsa_exception_fp_ieee_underflow 0
		.amdhsa_exception_fp_ieee_inexact 0
		.amdhsa_exception_int_div_zero 0
	.end_amdhsa_kernel
	.section	.text._ZN7rocprim17ROCPRIM_400000_NS6detail17trampoline_kernelINS0_14default_configENS1_38merge_sort_block_merge_config_selectorIN6thrust23THRUST_200600_302600_NS5tupleIffNS6_9null_typeES8_S8_S8_S8_S8_S8_S8_EENS0_10empty_typeEEEZZNS1_27merge_sort_block_merge_implIS3_NS6_6detail15normal_iteratorINS6_10device_ptrIS9_EEEEPSA_mNS6_4lessIS9_EEEE10hipError_tT0_T1_T2_jT3_P12ihipStream_tbPNSt15iterator_traitsISM_E10value_typeEPNSS_ISN_E10value_typeEPSO_NS1_7vsmem_tEENKUlT_SM_SN_SO_E_clISH_PS9_SI_SI_EESL_S11_SM_SN_SO_EUlS11_E1_NS1_11comp_targetILNS1_3genE4ELNS1_11target_archE910ELNS1_3gpuE8ELNS1_3repE0EEENS1_36merge_oddeven_config_static_selectorELNS0_4arch9wavefront6targetE1EEEvSN_,"axG",@progbits,_ZN7rocprim17ROCPRIM_400000_NS6detail17trampoline_kernelINS0_14default_configENS1_38merge_sort_block_merge_config_selectorIN6thrust23THRUST_200600_302600_NS5tupleIffNS6_9null_typeES8_S8_S8_S8_S8_S8_S8_EENS0_10empty_typeEEEZZNS1_27merge_sort_block_merge_implIS3_NS6_6detail15normal_iteratorINS6_10device_ptrIS9_EEEEPSA_mNS6_4lessIS9_EEEE10hipError_tT0_T1_T2_jT3_P12ihipStream_tbPNSt15iterator_traitsISM_E10value_typeEPNSS_ISN_E10value_typeEPSO_NS1_7vsmem_tEENKUlT_SM_SN_SO_E_clISH_PS9_SI_SI_EESL_S11_SM_SN_SO_EUlS11_E1_NS1_11comp_targetILNS1_3genE4ELNS1_11target_archE910ELNS1_3gpuE8ELNS1_3repE0EEENS1_36merge_oddeven_config_static_selectorELNS0_4arch9wavefront6targetE1EEEvSN_,comdat
.Lfunc_end70:
	.size	_ZN7rocprim17ROCPRIM_400000_NS6detail17trampoline_kernelINS0_14default_configENS1_38merge_sort_block_merge_config_selectorIN6thrust23THRUST_200600_302600_NS5tupleIffNS6_9null_typeES8_S8_S8_S8_S8_S8_S8_EENS0_10empty_typeEEEZZNS1_27merge_sort_block_merge_implIS3_NS6_6detail15normal_iteratorINS6_10device_ptrIS9_EEEEPSA_mNS6_4lessIS9_EEEE10hipError_tT0_T1_T2_jT3_P12ihipStream_tbPNSt15iterator_traitsISM_E10value_typeEPNSS_ISN_E10value_typeEPSO_NS1_7vsmem_tEENKUlT_SM_SN_SO_E_clISH_PS9_SI_SI_EESL_S11_SM_SN_SO_EUlS11_E1_NS1_11comp_targetILNS1_3genE4ELNS1_11target_archE910ELNS1_3gpuE8ELNS1_3repE0EEENS1_36merge_oddeven_config_static_selectorELNS0_4arch9wavefront6targetE1EEEvSN_, .Lfunc_end70-_ZN7rocprim17ROCPRIM_400000_NS6detail17trampoline_kernelINS0_14default_configENS1_38merge_sort_block_merge_config_selectorIN6thrust23THRUST_200600_302600_NS5tupleIffNS6_9null_typeES8_S8_S8_S8_S8_S8_S8_EENS0_10empty_typeEEEZZNS1_27merge_sort_block_merge_implIS3_NS6_6detail15normal_iteratorINS6_10device_ptrIS9_EEEEPSA_mNS6_4lessIS9_EEEE10hipError_tT0_T1_T2_jT3_P12ihipStream_tbPNSt15iterator_traitsISM_E10value_typeEPNSS_ISN_E10value_typeEPSO_NS1_7vsmem_tEENKUlT_SM_SN_SO_E_clISH_PS9_SI_SI_EESL_S11_SM_SN_SO_EUlS11_E1_NS1_11comp_targetILNS1_3genE4ELNS1_11target_archE910ELNS1_3gpuE8ELNS1_3repE0EEENS1_36merge_oddeven_config_static_selectorELNS0_4arch9wavefront6targetE1EEEvSN_
                                        ; -- End function
	.section	.AMDGPU.csdata,"",@progbits
; Kernel info:
; codeLenInByte = 0
; NumSgprs: 6
; NumVgprs: 0
; NumAgprs: 0
; TotalNumVgprs: 0
; ScratchSize: 0
; MemoryBound: 0
; FloatMode: 240
; IeeeMode: 1
; LDSByteSize: 0 bytes/workgroup (compile time only)
; SGPRBlocks: 0
; VGPRBlocks: 0
; NumSGPRsForWavesPerEU: 6
; NumVGPRsForWavesPerEU: 1
; AccumOffset: 4
; Occupancy: 8
; WaveLimiterHint : 0
; COMPUTE_PGM_RSRC2:SCRATCH_EN: 0
; COMPUTE_PGM_RSRC2:USER_SGPR: 2
; COMPUTE_PGM_RSRC2:TRAP_HANDLER: 0
; COMPUTE_PGM_RSRC2:TGID_X_EN: 1
; COMPUTE_PGM_RSRC2:TGID_Y_EN: 0
; COMPUTE_PGM_RSRC2:TGID_Z_EN: 0
; COMPUTE_PGM_RSRC2:TIDIG_COMP_CNT: 0
; COMPUTE_PGM_RSRC3_GFX90A:ACCUM_OFFSET: 0
; COMPUTE_PGM_RSRC3_GFX90A:TG_SPLIT: 0
	.section	.text._ZN7rocprim17ROCPRIM_400000_NS6detail17trampoline_kernelINS0_14default_configENS1_38merge_sort_block_merge_config_selectorIN6thrust23THRUST_200600_302600_NS5tupleIffNS6_9null_typeES8_S8_S8_S8_S8_S8_S8_EENS0_10empty_typeEEEZZNS1_27merge_sort_block_merge_implIS3_NS6_6detail15normal_iteratorINS6_10device_ptrIS9_EEEEPSA_mNS6_4lessIS9_EEEE10hipError_tT0_T1_T2_jT3_P12ihipStream_tbPNSt15iterator_traitsISM_E10value_typeEPNSS_ISN_E10value_typeEPSO_NS1_7vsmem_tEENKUlT_SM_SN_SO_E_clISH_PS9_SI_SI_EESL_S11_SM_SN_SO_EUlS11_E1_NS1_11comp_targetILNS1_3genE3ELNS1_11target_archE908ELNS1_3gpuE7ELNS1_3repE0EEENS1_36merge_oddeven_config_static_selectorELNS0_4arch9wavefront6targetE1EEEvSN_,"axG",@progbits,_ZN7rocprim17ROCPRIM_400000_NS6detail17trampoline_kernelINS0_14default_configENS1_38merge_sort_block_merge_config_selectorIN6thrust23THRUST_200600_302600_NS5tupleIffNS6_9null_typeES8_S8_S8_S8_S8_S8_S8_EENS0_10empty_typeEEEZZNS1_27merge_sort_block_merge_implIS3_NS6_6detail15normal_iteratorINS6_10device_ptrIS9_EEEEPSA_mNS6_4lessIS9_EEEE10hipError_tT0_T1_T2_jT3_P12ihipStream_tbPNSt15iterator_traitsISM_E10value_typeEPNSS_ISN_E10value_typeEPSO_NS1_7vsmem_tEENKUlT_SM_SN_SO_E_clISH_PS9_SI_SI_EESL_S11_SM_SN_SO_EUlS11_E1_NS1_11comp_targetILNS1_3genE3ELNS1_11target_archE908ELNS1_3gpuE7ELNS1_3repE0EEENS1_36merge_oddeven_config_static_selectorELNS0_4arch9wavefront6targetE1EEEvSN_,comdat
	.protected	_ZN7rocprim17ROCPRIM_400000_NS6detail17trampoline_kernelINS0_14default_configENS1_38merge_sort_block_merge_config_selectorIN6thrust23THRUST_200600_302600_NS5tupleIffNS6_9null_typeES8_S8_S8_S8_S8_S8_S8_EENS0_10empty_typeEEEZZNS1_27merge_sort_block_merge_implIS3_NS6_6detail15normal_iteratorINS6_10device_ptrIS9_EEEEPSA_mNS6_4lessIS9_EEEE10hipError_tT0_T1_T2_jT3_P12ihipStream_tbPNSt15iterator_traitsISM_E10value_typeEPNSS_ISN_E10value_typeEPSO_NS1_7vsmem_tEENKUlT_SM_SN_SO_E_clISH_PS9_SI_SI_EESL_S11_SM_SN_SO_EUlS11_E1_NS1_11comp_targetILNS1_3genE3ELNS1_11target_archE908ELNS1_3gpuE7ELNS1_3repE0EEENS1_36merge_oddeven_config_static_selectorELNS0_4arch9wavefront6targetE1EEEvSN_ ; -- Begin function _ZN7rocprim17ROCPRIM_400000_NS6detail17trampoline_kernelINS0_14default_configENS1_38merge_sort_block_merge_config_selectorIN6thrust23THRUST_200600_302600_NS5tupleIffNS6_9null_typeES8_S8_S8_S8_S8_S8_S8_EENS0_10empty_typeEEEZZNS1_27merge_sort_block_merge_implIS3_NS6_6detail15normal_iteratorINS6_10device_ptrIS9_EEEEPSA_mNS6_4lessIS9_EEEE10hipError_tT0_T1_T2_jT3_P12ihipStream_tbPNSt15iterator_traitsISM_E10value_typeEPNSS_ISN_E10value_typeEPSO_NS1_7vsmem_tEENKUlT_SM_SN_SO_E_clISH_PS9_SI_SI_EESL_S11_SM_SN_SO_EUlS11_E1_NS1_11comp_targetILNS1_3genE3ELNS1_11target_archE908ELNS1_3gpuE7ELNS1_3repE0EEENS1_36merge_oddeven_config_static_selectorELNS0_4arch9wavefront6targetE1EEEvSN_
	.globl	_ZN7rocprim17ROCPRIM_400000_NS6detail17trampoline_kernelINS0_14default_configENS1_38merge_sort_block_merge_config_selectorIN6thrust23THRUST_200600_302600_NS5tupleIffNS6_9null_typeES8_S8_S8_S8_S8_S8_S8_EENS0_10empty_typeEEEZZNS1_27merge_sort_block_merge_implIS3_NS6_6detail15normal_iteratorINS6_10device_ptrIS9_EEEEPSA_mNS6_4lessIS9_EEEE10hipError_tT0_T1_T2_jT3_P12ihipStream_tbPNSt15iterator_traitsISM_E10value_typeEPNSS_ISN_E10value_typeEPSO_NS1_7vsmem_tEENKUlT_SM_SN_SO_E_clISH_PS9_SI_SI_EESL_S11_SM_SN_SO_EUlS11_E1_NS1_11comp_targetILNS1_3genE3ELNS1_11target_archE908ELNS1_3gpuE7ELNS1_3repE0EEENS1_36merge_oddeven_config_static_selectorELNS0_4arch9wavefront6targetE1EEEvSN_
	.p2align	8
	.type	_ZN7rocprim17ROCPRIM_400000_NS6detail17trampoline_kernelINS0_14default_configENS1_38merge_sort_block_merge_config_selectorIN6thrust23THRUST_200600_302600_NS5tupleIffNS6_9null_typeES8_S8_S8_S8_S8_S8_S8_EENS0_10empty_typeEEEZZNS1_27merge_sort_block_merge_implIS3_NS6_6detail15normal_iteratorINS6_10device_ptrIS9_EEEEPSA_mNS6_4lessIS9_EEEE10hipError_tT0_T1_T2_jT3_P12ihipStream_tbPNSt15iterator_traitsISM_E10value_typeEPNSS_ISN_E10value_typeEPSO_NS1_7vsmem_tEENKUlT_SM_SN_SO_E_clISH_PS9_SI_SI_EESL_S11_SM_SN_SO_EUlS11_E1_NS1_11comp_targetILNS1_3genE3ELNS1_11target_archE908ELNS1_3gpuE7ELNS1_3repE0EEENS1_36merge_oddeven_config_static_selectorELNS0_4arch9wavefront6targetE1EEEvSN_,@function
_ZN7rocprim17ROCPRIM_400000_NS6detail17trampoline_kernelINS0_14default_configENS1_38merge_sort_block_merge_config_selectorIN6thrust23THRUST_200600_302600_NS5tupleIffNS6_9null_typeES8_S8_S8_S8_S8_S8_S8_EENS0_10empty_typeEEEZZNS1_27merge_sort_block_merge_implIS3_NS6_6detail15normal_iteratorINS6_10device_ptrIS9_EEEEPSA_mNS6_4lessIS9_EEEE10hipError_tT0_T1_T2_jT3_P12ihipStream_tbPNSt15iterator_traitsISM_E10value_typeEPNSS_ISN_E10value_typeEPSO_NS1_7vsmem_tEENKUlT_SM_SN_SO_E_clISH_PS9_SI_SI_EESL_S11_SM_SN_SO_EUlS11_E1_NS1_11comp_targetILNS1_3genE3ELNS1_11target_archE908ELNS1_3gpuE7ELNS1_3repE0EEENS1_36merge_oddeven_config_static_selectorELNS0_4arch9wavefront6targetE1EEEvSN_: ; @_ZN7rocprim17ROCPRIM_400000_NS6detail17trampoline_kernelINS0_14default_configENS1_38merge_sort_block_merge_config_selectorIN6thrust23THRUST_200600_302600_NS5tupleIffNS6_9null_typeES8_S8_S8_S8_S8_S8_S8_EENS0_10empty_typeEEEZZNS1_27merge_sort_block_merge_implIS3_NS6_6detail15normal_iteratorINS6_10device_ptrIS9_EEEEPSA_mNS6_4lessIS9_EEEE10hipError_tT0_T1_T2_jT3_P12ihipStream_tbPNSt15iterator_traitsISM_E10value_typeEPNSS_ISN_E10value_typeEPSO_NS1_7vsmem_tEENKUlT_SM_SN_SO_E_clISH_PS9_SI_SI_EESL_S11_SM_SN_SO_EUlS11_E1_NS1_11comp_targetILNS1_3genE3ELNS1_11target_archE908ELNS1_3gpuE7ELNS1_3repE0EEENS1_36merge_oddeven_config_static_selectorELNS0_4arch9wavefront6targetE1EEEvSN_
; %bb.0:
	.section	.rodata,"a",@progbits
	.p2align	6, 0x0
	.amdhsa_kernel _ZN7rocprim17ROCPRIM_400000_NS6detail17trampoline_kernelINS0_14default_configENS1_38merge_sort_block_merge_config_selectorIN6thrust23THRUST_200600_302600_NS5tupleIffNS6_9null_typeES8_S8_S8_S8_S8_S8_S8_EENS0_10empty_typeEEEZZNS1_27merge_sort_block_merge_implIS3_NS6_6detail15normal_iteratorINS6_10device_ptrIS9_EEEEPSA_mNS6_4lessIS9_EEEE10hipError_tT0_T1_T2_jT3_P12ihipStream_tbPNSt15iterator_traitsISM_E10value_typeEPNSS_ISN_E10value_typeEPSO_NS1_7vsmem_tEENKUlT_SM_SN_SO_E_clISH_PS9_SI_SI_EESL_S11_SM_SN_SO_EUlS11_E1_NS1_11comp_targetILNS1_3genE3ELNS1_11target_archE908ELNS1_3gpuE7ELNS1_3repE0EEENS1_36merge_oddeven_config_static_selectorELNS0_4arch9wavefront6targetE1EEEvSN_
		.amdhsa_group_segment_fixed_size 0
		.amdhsa_private_segment_fixed_size 0
		.amdhsa_kernarg_size 56
		.amdhsa_user_sgpr_count 2
		.amdhsa_user_sgpr_dispatch_ptr 0
		.amdhsa_user_sgpr_queue_ptr 0
		.amdhsa_user_sgpr_kernarg_segment_ptr 1
		.amdhsa_user_sgpr_dispatch_id 0
		.amdhsa_user_sgpr_kernarg_preload_length 0
		.amdhsa_user_sgpr_kernarg_preload_offset 0
		.amdhsa_user_sgpr_private_segment_size 0
		.amdhsa_uses_dynamic_stack 0
		.amdhsa_enable_private_segment 0
		.amdhsa_system_sgpr_workgroup_id_x 1
		.amdhsa_system_sgpr_workgroup_id_y 0
		.amdhsa_system_sgpr_workgroup_id_z 0
		.amdhsa_system_sgpr_workgroup_info 0
		.amdhsa_system_vgpr_workitem_id 0
		.amdhsa_next_free_vgpr 1
		.amdhsa_next_free_sgpr 0
		.amdhsa_accum_offset 4
		.amdhsa_reserve_vcc 0
		.amdhsa_float_round_mode_32 0
		.amdhsa_float_round_mode_16_64 0
		.amdhsa_float_denorm_mode_32 3
		.amdhsa_float_denorm_mode_16_64 3
		.amdhsa_dx10_clamp 1
		.amdhsa_ieee_mode 1
		.amdhsa_fp16_overflow 0
		.amdhsa_tg_split 0
		.amdhsa_exception_fp_ieee_invalid_op 0
		.amdhsa_exception_fp_denorm_src 0
		.amdhsa_exception_fp_ieee_div_zero 0
		.amdhsa_exception_fp_ieee_overflow 0
		.amdhsa_exception_fp_ieee_underflow 0
		.amdhsa_exception_fp_ieee_inexact 0
		.amdhsa_exception_int_div_zero 0
	.end_amdhsa_kernel
	.section	.text._ZN7rocprim17ROCPRIM_400000_NS6detail17trampoline_kernelINS0_14default_configENS1_38merge_sort_block_merge_config_selectorIN6thrust23THRUST_200600_302600_NS5tupleIffNS6_9null_typeES8_S8_S8_S8_S8_S8_S8_EENS0_10empty_typeEEEZZNS1_27merge_sort_block_merge_implIS3_NS6_6detail15normal_iteratorINS6_10device_ptrIS9_EEEEPSA_mNS6_4lessIS9_EEEE10hipError_tT0_T1_T2_jT3_P12ihipStream_tbPNSt15iterator_traitsISM_E10value_typeEPNSS_ISN_E10value_typeEPSO_NS1_7vsmem_tEENKUlT_SM_SN_SO_E_clISH_PS9_SI_SI_EESL_S11_SM_SN_SO_EUlS11_E1_NS1_11comp_targetILNS1_3genE3ELNS1_11target_archE908ELNS1_3gpuE7ELNS1_3repE0EEENS1_36merge_oddeven_config_static_selectorELNS0_4arch9wavefront6targetE1EEEvSN_,"axG",@progbits,_ZN7rocprim17ROCPRIM_400000_NS6detail17trampoline_kernelINS0_14default_configENS1_38merge_sort_block_merge_config_selectorIN6thrust23THRUST_200600_302600_NS5tupleIffNS6_9null_typeES8_S8_S8_S8_S8_S8_S8_EENS0_10empty_typeEEEZZNS1_27merge_sort_block_merge_implIS3_NS6_6detail15normal_iteratorINS6_10device_ptrIS9_EEEEPSA_mNS6_4lessIS9_EEEE10hipError_tT0_T1_T2_jT3_P12ihipStream_tbPNSt15iterator_traitsISM_E10value_typeEPNSS_ISN_E10value_typeEPSO_NS1_7vsmem_tEENKUlT_SM_SN_SO_E_clISH_PS9_SI_SI_EESL_S11_SM_SN_SO_EUlS11_E1_NS1_11comp_targetILNS1_3genE3ELNS1_11target_archE908ELNS1_3gpuE7ELNS1_3repE0EEENS1_36merge_oddeven_config_static_selectorELNS0_4arch9wavefront6targetE1EEEvSN_,comdat
.Lfunc_end71:
	.size	_ZN7rocprim17ROCPRIM_400000_NS6detail17trampoline_kernelINS0_14default_configENS1_38merge_sort_block_merge_config_selectorIN6thrust23THRUST_200600_302600_NS5tupleIffNS6_9null_typeES8_S8_S8_S8_S8_S8_S8_EENS0_10empty_typeEEEZZNS1_27merge_sort_block_merge_implIS3_NS6_6detail15normal_iteratorINS6_10device_ptrIS9_EEEEPSA_mNS6_4lessIS9_EEEE10hipError_tT0_T1_T2_jT3_P12ihipStream_tbPNSt15iterator_traitsISM_E10value_typeEPNSS_ISN_E10value_typeEPSO_NS1_7vsmem_tEENKUlT_SM_SN_SO_E_clISH_PS9_SI_SI_EESL_S11_SM_SN_SO_EUlS11_E1_NS1_11comp_targetILNS1_3genE3ELNS1_11target_archE908ELNS1_3gpuE7ELNS1_3repE0EEENS1_36merge_oddeven_config_static_selectorELNS0_4arch9wavefront6targetE1EEEvSN_, .Lfunc_end71-_ZN7rocprim17ROCPRIM_400000_NS6detail17trampoline_kernelINS0_14default_configENS1_38merge_sort_block_merge_config_selectorIN6thrust23THRUST_200600_302600_NS5tupleIffNS6_9null_typeES8_S8_S8_S8_S8_S8_S8_EENS0_10empty_typeEEEZZNS1_27merge_sort_block_merge_implIS3_NS6_6detail15normal_iteratorINS6_10device_ptrIS9_EEEEPSA_mNS6_4lessIS9_EEEE10hipError_tT0_T1_T2_jT3_P12ihipStream_tbPNSt15iterator_traitsISM_E10value_typeEPNSS_ISN_E10value_typeEPSO_NS1_7vsmem_tEENKUlT_SM_SN_SO_E_clISH_PS9_SI_SI_EESL_S11_SM_SN_SO_EUlS11_E1_NS1_11comp_targetILNS1_3genE3ELNS1_11target_archE908ELNS1_3gpuE7ELNS1_3repE0EEENS1_36merge_oddeven_config_static_selectorELNS0_4arch9wavefront6targetE1EEEvSN_
                                        ; -- End function
	.section	.AMDGPU.csdata,"",@progbits
; Kernel info:
; codeLenInByte = 0
; NumSgprs: 6
; NumVgprs: 0
; NumAgprs: 0
; TotalNumVgprs: 0
; ScratchSize: 0
; MemoryBound: 0
; FloatMode: 240
; IeeeMode: 1
; LDSByteSize: 0 bytes/workgroup (compile time only)
; SGPRBlocks: 0
; VGPRBlocks: 0
; NumSGPRsForWavesPerEU: 6
; NumVGPRsForWavesPerEU: 1
; AccumOffset: 4
; Occupancy: 8
; WaveLimiterHint : 0
; COMPUTE_PGM_RSRC2:SCRATCH_EN: 0
; COMPUTE_PGM_RSRC2:USER_SGPR: 2
; COMPUTE_PGM_RSRC2:TRAP_HANDLER: 0
; COMPUTE_PGM_RSRC2:TGID_X_EN: 1
; COMPUTE_PGM_RSRC2:TGID_Y_EN: 0
; COMPUTE_PGM_RSRC2:TGID_Z_EN: 0
; COMPUTE_PGM_RSRC2:TIDIG_COMP_CNT: 0
; COMPUTE_PGM_RSRC3_GFX90A:ACCUM_OFFSET: 0
; COMPUTE_PGM_RSRC3_GFX90A:TG_SPLIT: 0
	.section	.text._ZN7rocprim17ROCPRIM_400000_NS6detail17trampoline_kernelINS0_14default_configENS1_38merge_sort_block_merge_config_selectorIN6thrust23THRUST_200600_302600_NS5tupleIffNS6_9null_typeES8_S8_S8_S8_S8_S8_S8_EENS0_10empty_typeEEEZZNS1_27merge_sort_block_merge_implIS3_NS6_6detail15normal_iteratorINS6_10device_ptrIS9_EEEEPSA_mNS6_4lessIS9_EEEE10hipError_tT0_T1_T2_jT3_P12ihipStream_tbPNSt15iterator_traitsISM_E10value_typeEPNSS_ISN_E10value_typeEPSO_NS1_7vsmem_tEENKUlT_SM_SN_SO_E_clISH_PS9_SI_SI_EESL_S11_SM_SN_SO_EUlS11_E1_NS1_11comp_targetILNS1_3genE2ELNS1_11target_archE906ELNS1_3gpuE6ELNS1_3repE0EEENS1_36merge_oddeven_config_static_selectorELNS0_4arch9wavefront6targetE1EEEvSN_,"axG",@progbits,_ZN7rocprim17ROCPRIM_400000_NS6detail17trampoline_kernelINS0_14default_configENS1_38merge_sort_block_merge_config_selectorIN6thrust23THRUST_200600_302600_NS5tupleIffNS6_9null_typeES8_S8_S8_S8_S8_S8_S8_EENS0_10empty_typeEEEZZNS1_27merge_sort_block_merge_implIS3_NS6_6detail15normal_iteratorINS6_10device_ptrIS9_EEEEPSA_mNS6_4lessIS9_EEEE10hipError_tT0_T1_T2_jT3_P12ihipStream_tbPNSt15iterator_traitsISM_E10value_typeEPNSS_ISN_E10value_typeEPSO_NS1_7vsmem_tEENKUlT_SM_SN_SO_E_clISH_PS9_SI_SI_EESL_S11_SM_SN_SO_EUlS11_E1_NS1_11comp_targetILNS1_3genE2ELNS1_11target_archE906ELNS1_3gpuE6ELNS1_3repE0EEENS1_36merge_oddeven_config_static_selectorELNS0_4arch9wavefront6targetE1EEEvSN_,comdat
	.protected	_ZN7rocprim17ROCPRIM_400000_NS6detail17trampoline_kernelINS0_14default_configENS1_38merge_sort_block_merge_config_selectorIN6thrust23THRUST_200600_302600_NS5tupleIffNS6_9null_typeES8_S8_S8_S8_S8_S8_S8_EENS0_10empty_typeEEEZZNS1_27merge_sort_block_merge_implIS3_NS6_6detail15normal_iteratorINS6_10device_ptrIS9_EEEEPSA_mNS6_4lessIS9_EEEE10hipError_tT0_T1_T2_jT3_P12ihipStream_tbPNSt15iterator_traitsISM_E10value_typeEPNSS_ISN_E10value_typeEPSO_NS1_7vsmem_tEENKUlT_SM_SN_SO_E_clISH_PS9_SI_SI_EESL_S11_SM_SN_SO_EUlS11_E1_NS1_11comp_targetILNS1_3genE2ELNS1_11target_archE906ELNS1_3gpuE6ELNS1_3repE0EEENS1_36merge_oddeven_config_static_selectorELNS0_4arch9wavefront6targetE1EEEvSN_ ; -- Begin function _ZN7rocprim17ROCPRIM_400000_NS6detail17trampoline_kernelINS0_14default_configENS1_38merge_sort_block_merge_config_selectorIN6thrust23THRUST_200600_302600_NS5tupleIffNS6_9null_typeES8_S8_S8_S8_S8_S8_S8_EENS0_10empty_typeEEEZZNS1_27merge_sort_block_merge_implIS3_NS6_6detail15normal_iteratorINS6_10device_ptrIS9_EEEEPSA_mNS6_4lessIS9_EEEE10hipError_tT0_T1_T2_jT3_P12ihipStream_tbPNSt15iterator_traitsISM_E10value_typeEPNSS_ISN_E10value_typeEPSO_NS1_7vsmem_tEENKUlT_SM_SN_SO_E_clISH_PS9_SI_SI_EESL_S11_SM_SN_SO_EUlS11_E1_NS1_11comp_targetILNS1_3genE2ELNS1_11target_archE906ELNS1_3gpuE6ELNS1_3repE0EEENS1_36merge_oddeven_config_static_selectorELNS0_4arch9wavefront6targetE1EEEvSN_
	.globl	_ZN7rocprim17ROCPRIM_400000_NS6detail17trampoline_kernelINS0_14default_configENS1_38merge_sort_block_merge_config_selectorIN6thrust23THRUST_200600_302600_NS5tupleIffNS6_9null_typeES8_S8_S8_S8_S8_S8_S8_EENS0_10empty_typeEEEZZNS1_27merge_sort_block_merge_implIS3_NS6_6detail15normal_iteratorINS6_10device_ptrIS9_EEEEPSA_mNS6_4lessIS9_EEEE10hipError_tT0_T1_T2_jT3_P12ihipStream_tbPNSt15iterator_traitsISM_E10value_typeEPNSS_ISN_E10value_typeEPSO_NS1_7vsmem_tEENKUlT_SM_SN_SO_E_clISH_PS9_SI_SI_EESL_S11_SM_SN_SO_EUlS11_E1_NS1_11comp_targetILNS1_3genE2ELNS1_11target_archE906ELNS1_3gpuE6ELNS1_3repE0EEENS1_36merge_oddeven_config_static_selectorELNS0_4arch9wavefront6targetE1EEEvSN_
	.p2align	8
	.type	_ZN7rocprim17ROCPRIM_400000_NS6detail17trampoline_kernelINS0_14default_configENS1_38merge_sort_block_merge_config_selectorIN6thrust23THRUST_200600_302600_NS5tupleIffNS6_9null_typeES8_S8_S8_S8_S8_S8_S8_EENS0_10empty_typeEEEZZNS1_27merge_sort_block_merge_implIS3_NS6_6detail15normal_iteratorINS6_10device_ptrIS9_EEEEPSA_mNS6_4lessIS9_EEEE10hipError_tT0_T1_T2_jT3_P12ihipStream_tbPNSt15iterator_traitsISM_E10value_typeEPNSS_ISN_E10value_typeEPSO_NS1_7vsmem_tEENKUlT_SM_SN_SO_E_clISH_PS9_SI_SI_EESL_S11_SM_SN_SO_EUlS11_E1_NS1_11comp_targetILNS1_3genE2ELNS1_11target_archE906ELNS1_3gpuE6ELNS1_3repE0EEENS1_36merge_oddeven_config_static_selectorELNS0_4arch9wavefront6targetE1EEEvSN_,@function
_ZN7rocprim17ROCPRIM_400000_NS6detail17trampoline_kernelINS0_14default_configENS1_38merge_sort_block_merge_config_selectorIN6thrust23THRUST_200600_302600_NS5tupleIffNS6_9null_typeES8_S8_S8_S8_S8_S8_S8_EENS0_10empty_typeEEEZZNS1_27merge_sort_block_merge_implIS3_NS6_6detail15normal_iteratorINS6_10device_ptrIS9_EEEEPSA_mNS6_4lessIS9_EEEE10hipError_tT0_T1_T2_jT3_P12ihipStream_tbPNSt15iterator_traitsISM_E10value_typeEPNSS_ISN_E10value_typeEPSO_NS1_7vsmem_tEENKUlT_SM_SN_SO_E_clISH_PS9_SI_SI_EESL_S11_SM_SN_SO_EUlS11_E1_NS1_11comp_targetILNS1_3genE2ELNS1_11target_archE906ELNS1_3gpuE6ELNS1_3repE0EEENS1_36merge_oddeven_config_static_selectorELNS0_4arch9wavefront6targetE1EEEvSN_: ; @_ZN7rocprim17ROCPRIM_400000_NS6detail17trampoline_kernelINS0_14default_configENS1_38merge_sort_block_merge_config_selectorIN6thrust23THRUST_200600_302600_NS5tupleIffNS6_9null_typeES8_S8_S8_S8_S8_S8_S8_EENS0_10empty_typeEEEZZNS1_27merge_sort_block_merge_implIS3_NS6_6detail15normal_iteratorINS6_10device_ptrIS9_EEEEPSA_mNS6_4lessIS9_EEEE10hipError_tT0_T1_T2_jT3_P12ihipStream_tbPNSt15iterator_traitsISM_E10value_typeEPNSS_ISN_E10value_typeEPSO_NS1_7vsmem_tEENKUlT_SM_SN_SO_E_clISH_PS9_SI_SI_EESL_S11_SM_SN_SO_EUlS11_E1_NS1_11comp_targetILNS1_3genE2ELNS1_11target_archE906ELNS1_3gpuE6ELNS1_3repE0EEENS1_36merge_oddeven_config_static_selectorELNS0_4arch9wavefront6targetE1EEEvSN_
; %bb.0:
	.section	.rodata,"a",@progbits
	.p2align	6, 0x0
	.amdhsa_kernel _ZN7rocprim17ROCPRIM_400000_NS6detail17trampoline_kernelINS0_14default_configENS1_38merge_sort_block_merge_config_selectorIN6thrust23THRUST_200600_302600_NS5tupleIffNS6_9null_typeES8_S8_S8_S8_S8_S8_S8_EENS0_10empty_typeEEEZZNS1_27merge_sort_block_merge_implIS3_NS6_6detail15normal_iteratorINS6_10device_ptrIS9_EEEEPSA_mNS6_4lessIS9_EEEE10hipError_tT0_T1_T2_jT3_P12ihipStream_tbPNSt15iterator_traitsISM_E10value_typeEPNSS_ISN_E10value_typeEPSO_NS1_7vsmem_tEENKUlT_SM_SN_SO_E_clISH_PS9_SI_SI_EESL_S11_SM_SN_SO_EUlS11_E1_NS1_11comp_targetILNS1_3genE2ELNS1_11target_archE906ELNS1_3gpuE6ELNS1_3repE0EEENS1_36merge_oddeven_config_static_selectorELNS0_4arch9wavefront6targetE1EEEvSN_
		.amdhsa_group_segment_fixed_size 0
		.amdhsa_private_segment_fixed_size 0
		.amdhsa_kernarg_size 56
		.amdhsa_user_sgpr_count 2
		.amdhsa_user_sgpr_dispatch_ptr 0
		.amdhsa_user_sgpr_queue_ptr 0
		.amdhsa_user_sgpr_kernarg_segment_ptr 1
		.amdhsa_user_sgpr_dispatch_id 0
		.amdhsa_user_sgpr_kernarg_preload_length 0
		.amdhsa_user_sgpr_kernarg_preload_offset 0
		.amdhsa_user_sgpr_private_segment_size 0
		.amdhsa_uses_dynamic_stack 0
		.amdhsa_enable_private_segment 0
		.amdhsa_system_sgpr_workgroup_id_x 1
		.amdhsa_system_sgpr_workgroup_id_y 0
		.amdhsa_system_sgpr_workgroup_id_z 0
		.amdhsa_system_sgpr_workgroup_info 0
		.amdhsa_system_vgpr_workitem_id 0
		.amdhsa_next_free_vgpr 1
		.amdhsa_next_free_sgpr 0
		.amdhsa_accum_offset 4
		.amdhsa_reserve_vcc 0
		.amdhsa_float_round_mode_32 0
		.amdhsa_float_round_mode_16_64 0
		.amdhsa_float_denorm_mode_32 3
		.amdhsa_float_denorm_mode_16_64 3
		.amdhsa_dx10_clamp 1
		.amdhsa_ieee_mode 1
		.amdhsa_fp16_overflow 0
		.amdhsa_tg_split 0
		.amdhsa_exception_fp_ieee_invalid_op 0
		.amdhsa_exception_fp_denorm_src 0
		.amdhsa_exception_fp_ieee_div_zero 0
		.amdhsa_exception_fp_ieee_overflow 0
		.amdhsa_exception_fp_ieee_underflow 0
		.amdhsa_exception_fp_ieee_inexact 0
		.amdhsa_exception_int_div_zero 0
	.end_amdhsa_kernel
	.section	.text._ZN7rocprim17ROCPRIM_400000_NS6detail17trampoline_kernelINS0_14default_configENS1_38merge_sort_block_merge_config_selectorIN6thrust23THRUST_200600_302600_NS5tupleIffNS6_9null_typeES8_S8_S8_S8_S8_S8_S8_EENS0_10empty_typeEEEZZNS1_27merge_sort_block_merge_implIS3_NS6_6detail15normal_iteratorINS6_10device_ptrIS9_EEEEPSA_mNS6_4lessIS9_EEEE10hipError_tT0_T1_T2_jT3_P12ihipStream_tbPNSt15iterator_traitsISM_E10value_typeEPNSS_ISN_E10value_typeEPSO_NS1_7vsmem_tEENKUlT_SM_SN_SO_E_clISH_PS9_SI_SI_EESL_S11_SM_SN_SO_EUlS11_E1_NS1_11comp_targetILNS1_3genE2ELNS1_11target_archE906ELNS1_3gpuE6ELNS1_3repE0EEENS1_36merge_oddeven_config_static_selectorELNS0_4arch9wavefront6targetE1EEEvSN_,"axG",@progbits,_ZN7rocprim17ROCPRIM_400000_NS6detail17trampoline_kernelINS0_14default_configENS1_38merge_sort_block_merge_config_selectorIN6thrust23THRUST_200600_302600_NS5tupleIffNS6_9null_typeES8_S8_S8_S8_S8_S8_S8_EENS0_10empty_typeEEEZZNS1_27merge_sort_block_merge_implIS3_NS6_6detail15normal_iteratorINS6_10device_ptrIS9_EEEEPSA_mNS6_4lessIS9_EEEE10hipError_tT0_T1_T2_jT3_P12ihipStream_tbPNSt15iterator_traitsISM_E10value_typeEPNSS_ISN_E10value_typeEPSO_NS1_7vsmem_tEENKUlT_SM_SN_SO_E_clISH_PS9_SI_SI_EESL_S11_SM_SN_SO_EUlS11_E1_NS1_11comp_targetILNS1_3genE2ELNS1_11target_archE906ELNS1_3gpuE6ELNS1_3repE0EEENS1_36merge_oddeven_config_static_selectorELNS0_4arch9wavefront6targetE1EEEvSN_,comdat
.Lfunc_end72:
	.size	_ZN7rocprim17ROCPRIM_400000_NS6detail17trampoline_kernelINS0_14default_configENS1_38merge_sort_block_merge_config_selectorIN6thrust23THRUST_200600_302600_NS5tupleIffNS6_9null_typeES8_S8_S8_S8_S8_S8_S8_EENS0_10empty_typeEEEZZNS1_27merge_sort_block_merge_implIS3_NS6_6detail15normal_iteratorINS6_10device_ptrIS9_EEEEPSA_mNS6_4lessIS9_EEEE10hipError_tT0_T1_T2_jT3_P12ihipStream_tbPNSt15iterator_traitsISM_E10value_typeEPNSS_ISN_E10value_typeEPSO_NS1_7vsmem_tEENKUlT_SM_SN_SO_E_clISH_PS9_SI_SI_EESL_S11_SM_SN_SO_EUlS11_E1_NS1_11comp_targetILNS1_3genE2ELNS1_11target_archE906ELNS1_3gpuE6ELNS1_3repE0EEENS1_36merge_oddeven_config_static_selectorELNS0_4arch9wavefront6targetE1EEEvSN_, .Lfunc_end72-_ZN7rocprim17ROCPRIM_400000_NS6detail17trampoline_kernelINS0_14default_configENS1_38merge_sort_block_merge_config_selectorIN6thrust23THRUST_200600_302600_NS5tupleIffNS6_9null_typeES8_S8_S8_S8_S8_S8_S8_EENS0_10empty_typeEEEZZNS1_27merge_sort_block_merge_implIS3_NS6_6detail15normal_iteratorINS6_10device_ptrIS9_EEEEPSA_mNS6_4lessIS9_EEEE10hipError_tT0_T1_T2_jT3_P12ihipStream_tbPNSt15iterator_traitsISM_E10value_typeEPNSS_ISN_E10value_typeEPSO_NS1_7vsmem_tEENKUlT_SM_SN_SO_E_clISH_PS9_SI_SI_EESL_S11_SM_SN_SO_EUlS11_E1_NS1_11comp_targetILNS1_3genE2ELNS1_11target_archE906ELNS1_3gpuE6ELNS1_3repE0EEENS1_36merge_oddeven_config_static_selectorELNS0_4arch9wavefront6targetE1EEEvSN_
                                        ; -- End function
	.section	.AMDGPU.csdata,"",@progbits
; Kernel info:
; codeLenInByte = 0
; NumSgprs: 6
; NumVgprs: 0
; NumAgprs: 0
; TotalNumVgprs: 0
; ScratchSize: 0
; MemoryBound: 0
; FloatMode: 240
; IeeeMode: 1
; LDSByteSize: 0 bytes/workgroup (compile time only)
; SGPRBlocks: 0
; VGPRBlocks: 0
; NumSGPRsForWavesPerEU: 6
; NumVGPRsForWavesPerEU: 1
; AccumOffset: 4
; Occupancy: 8
; WaveLimiterHint : 0
; COMPUTE_PGM_RSRC2:SCRATCH_EN: 0
; COMPUTE_PGM_RSRC2:USER_SGPR: 2
; COMPUTE_PGM_RSRC2:TRAP_HANDLER: 0
; COMPUTE_PGM_RSRC2:TGID_X_EN: 1
; COMPUTE_PGM_RSRC2:TGID_Y_EN: 0
; COMPUTE_PGM_RSRC2:TGID_Z_EN: 0
; COMPUTE_PGM_RSRC2:TIDIG_COMP_CNT: 0
; COMPUTE_PGM_RSRC3_GFX90A:ACCUM_OFFSET: 0
; COMPUTE_PGM_RSRC3_GFX90A:TG_SPLIT: 0
	.section	.text._ZN7rocprim17ROCPRIM_400000_NS6detail17trampoline_kernelINS0_14default_configENS1_38merge_sort_block_merge_config_selectorIN6thrust23THRUST_200600_302600_NS5tupleIffNS6_9null_typeES8_S8_S8_S8_S8_S8_S8_EENS0_10empty_typeEEEZZNS1_27merge_sort_block_merge_implIS3_NS6_6detail15normal_iteratorINS6_10device_ptrIS9_EEEEPSA_mNS6_4lessIS9_EEEE10hipError_tT0_T1_T2_jT3_P12ihipStream_tbPNSt15iterator_traitsISM_E10value_typeEPNSS_ISN_E10value_typeEPSO_NS1_7vsmem_tEENKUlT_SM_SN_SO_E_clISH_PS9_SI_SI_EESL_S11_SM_SN_SO_EUlS11_E1_NS1_11comp_targetILNS1_3genE9ELNS1_11target_archE1100ELNS1_3gpuE3ELNS1_3repE0EEENS1_36merge_oddeven_config_static_selectorELNS0_4arch9wavefront6targetE1EEEvSN_,"axG",@progbits,_ZN7rocprim17ROCPRIM_400000_NS6detail17trampoline_kernelINS0_14default_configENS1_38merge_sort_block_merge_config_selectorIN6thrust23THRUST_200600_302600_NS5tupleIffNS6_9null_typeES8_S8_S8_S8_S8_S8_S8_EENS0_10empty_typeEEEZZNS1_27merge_sort_block_merge_implIS3_NS6_6detail15normal_iteratorINS6_10device_ptrIS9_EEEEPSA_mNS6_4lessIS9_EEEE10hipError_tT0_T1_T2_jT3_P12ihipStream_tbPNSt15iterator_traitsISM_E10value_typeEPNSS_ISN_E10value_typeEPSO_NS1_7vsmem_tEENKUlT_SM_SN_SO_E_clISH_PS9_SI_SI_EESL_S11_SM_SN_SO_EUlS11_E1_NS1_11comp_targetILNS1_3genE9ELNS1_11target_archE1100ELNS1_3gpuE3ELNS1_3repE0EEENS1_36merge_oddeven_config_static_selectorELNS0_4arch9wavefront6targetE1EEEvSN_,comdat
	.protected	_ZN7rocprim17ROCPRIM_400000_NS6detail17trampoline_kernelINS0_14default_configENS1_38merge_sort_block_merge_config_selectorIN6thrust23THRUST_200600_302600_NS5tupleIffNS6_9null_typeES8_S8_S8_S8_S8_S8_S8_EENS0_10empty_typeEEEZZNS1_27merge_sort_block_merge_implIS3_NS6_6detail15normal_iteratorINS6_10device_ptrIS9_EEEEPSA_mNS6_4lessIS9_EEEE10hipError_tT0_T1_T2_jT3_P12ihipStream_tbPNSt15iterator_traitsISM_E10value_typeEPNSS_ISN_E10value_typeEPSO_NS1_7vsmem_tEENKUlT_SM_SN_SO_E_clISH_PS9_SI_SI_EESL_S11_SM_SN_SO_EUlS11_E1_NS1_11comp_targetILNS1_3genE9ELNS1_11target_archE1100ELNS1_3gpuE3ELNS1_3repE0EEENS1_36merge_oddeven_config_static_selectorELNS0_4arch9wavefront6targetE1EEEvSN_ ; -- Begin function _ZN7rocprim17ROCPRIM_400000_NS6detail17trampoline_kernelINS0_14default_configENS1_38merge_sort_block_merge_config_selectorIN6thrust23THRUST_200600_302600_NS5tupleIffNS6_9null_typeES8_S8_S8_S8_S8_S8_S8_EENS0_10empty_typeEEEZZNS1_27merge_sort_block_merge_implIS3_NS6_6detail15normal_iteratorINS6_10device_ptrIS9_EEEEPSA_mNS6_4lessIS9_EEEE10hipError_tT0_T1_T2_jT3_P12ihipStream_tbPNSt15iterator_traitsISM_E10value_typeEPNSS_ISN_E10value_typeEPSO_NS1_7vsmem_tEENKUlT_SM_SN_SO_E_clISH_PS9_SI_SI_EESL_S11_SM_SN_SO_EUlS11_E1_NS1_11comp_targetILNS1_3genE9ELNS1_11target_archE1100ELNS1_3gpuE3ELNS1_3repE0EEENS1_36merge_oddeven_config_static_selectorELNS0_4arch9wavefront6targetE1EEEvSN_
	.globl	_ZN7rocprim17ROCPRIM_400000_NS6detail17trampoline_kernelINS0_14default_configENS1_38merge_sort_block_merge_config_selectorIN6thrust23THRUST_200600_302600_NS5tupleIffNS6_9null_typeES8_S8_S8_S8_S8_S8_S8_EENS0_10empty_typeEEEZZNS1_27merge_sort_block_merge_implIS3_NS6_6detail15normal_iteratorINS6_10device_ptrIS9_EEEEPSA_mNS6_4lessIS9_EEEE10hipError_tT0_T1_T2_jT3_P12ihipStream_tbPNSt15iterator_traitsISM_E10value_typeEPNSS_ISN_E10value_typeEPSO_NS1_7vsmem_tEENKUlT_SM_SN_SO_E_clISH_PS9_SI_SI_EESL_S11_SM_SN_SO_EUlS11_E1_NS1_11comp_targetILNS1_3genE9ELNS1_11target_archE1100ELNS1_3gpuE3ELNS1_3repE0EEENS1_36merge_oddeven_config_static_selectorELNS0_4arch9wavefront6targetE1EEEvSN_
	.p2align	8
	.type	_ZN7rocprim17ROCPRIM_400000_NS6detail17trampoline_kernelINS0_14default_configENS1_38merge_sort_block_merge_config_selectorIN6thrust23THRUST_200600_302600_NS5tupleIffNS6_9null_typeES8_S8_S8_S8_S8_S8_S8_EENS0_10empty_typeEEEZZNS1_27merge_sort_block_merge_implIS3_NS6_6detail15normal_iteratorINS6_10device_ptrIS9_EEEEPSA_mNS6_4lessIS9_EEEE10hipError_tT0_T1_T2_jT3_P12ihipStream_tbPNSt15iterator_traitsISM_E10value_typeEPNSS_ISN_E10value_typeEPSO_NS1_7vsmem_tEENKUlT_SM_SN_SO_E_clISH_PS9_SI_SI_EESL_S11_SM_SN_SO_EUlS11_E1_NS1_11comp_targetILNS1_3genE9ELNS1_11target_archE1100ELNS1_3gpuE3ELNS1_3repE0EEENS1_36merge_oddeven_config_static_selectorELNS0_4arch9wavefront6targetE1EEEvSN_,@function
_ZN7rocprim17ROCPRIM_400000_NS6detail17trampoline_kernelINS0_14default_configENS1_38merge_sort_block_merge_config_selectorIN6thrust23THRUST_200600_302600_NS5tupleIffNS6_9null_typeES8_S8_S8_S8_S8_S8_S8_EENS0_10empty_typeEEEZZNS1_27merge_sort_block_merge_implIS3_NS6_6detail15normal_iteratorINS6_10device_ptrIS9_EEEEPSA_mNS6_4lessIS9_EEEE10hipError_tT0_T1_T2_jT3_P12ihipStream_tbPNSt15iterator_traitsISM_E10value_typeEPNSS_ISN_E10value_typeEPSO_NS1_7vsmem_tEENKUlT_SM_SN_SO_E_clISH_PS9_SI_SI_EESL_S11_SM_SN_SO_EUlS11_E1_NS1_11comp_targetILNS1_3genE9ELNS1_11target_archE1100ELNS1_3gpuE3ELNS1_3repE0EEENS1_36merge_oddeven_config_static_selectorELNS0_4arch9wavefront6targetE1EEEvSN_: ; @_ZN7rocprim17ROCPRIM_400000_NS6detail17trampoline_kernelINS0_14default_configENS1_38merge_sort_block_merge_config_selectorIN6thrust23THRUST_200600_302600_NS5tupleIffNS6_9null_typeES8_S8_S8_S8_S8_S8_S8_EENS0_10empty_typeEEEZZNS1_27merge_sort_block_merge_implIS3_NS6_6detail15normal_iteratorINS6_10device_ptrIS9_EEEEPSA_mNS6_4lessIS9_EEEE10hipError_tT0_T1_T2_jT3_P12ihipStream_tbPNSt15iterator_traitsISM_E10value_typeEPNSS_ISN_E10value_typeEPSO_NS1_7vsmem_tEENKUlT_SM_SN_SO_E_clISH_PS9_SI_SI_EESL_S11_SM_SN_SO_EUlS11_E1_NS1_11comp_targetILNS1_3genE9ELNS1_11target_archE1100ELNS1_3gpuE3ELNS1_3repE0EEENS1_36merge_oddeven_config_static_selectorELNS0_4arch9wavefront6targetE1EEEvSN_
; %bb.0:
	.section	.rodata,"a",@progbits
	.p2align	6, 0x0
	.amdhsa_kernel _ZN7rocprim17ROCPRIM_400000_NS6detail17trampoline_kernelINS0_14default_configENS1_38merge_sort_block_merge_config_selectorIN6thrust23THRUST_200600_302600_NS5tupleIffNS6_9null_typeES8_S8_S8_S8_S8_S8_S8_EENS0_10empty_typeEEEZZNS1_27merge_sort_block_merge_implIS3_NS6_6detail15normal_iteratorINS6_10device_ptrIS9_EEEEPSA_mNS6_4lessIS9_EEEE10hipError_tT0_T1_T2_jT3_P12ihipStream_tbPNSt15iterator_traitsISM_E10value_typeEPNSS_ISN_E10value_typeEPSO_NS1_7vsmem_tEENKUlT_SM_SN_SO_E_clISH_PS9_SI_SI_EESL_S11_SM_SN_SO_EUlS11_E1_NS1_11comp_targetILNS1_3genE9ELNS1_11target_archE1100ELNS1_3gpuE3ELNS1_3repE0EEENS1_36merge_oddeven_config_static_selectorELNS0_4arch9wavefront6targetE1EEEvSN_
		.amdhsa_group_segment_fixed_size 0
		.amdhsa_private_segment_fixed_size 0
		.amdhsa_kernarg_size 56
		.amdhsa_user_sgpr_count 2
		.amdhsa_user_sgpr_dispatch_ptr 0
		.amdhsa_user_sgpr_queue_ptr 0
		.amdhsa_user_sgpr_kernarg_segment_ptr 1
		.amdhsa_user_sgpr_dispatch_id 0
		.amdhsa_user_sgpr_kernarg_preload_length 0
		.amdhsa_user_sgpr_kernarg_preload_offset 0
		.amdhsa_user_sgpr_private_segment_size 0
		.amdhsa_uses_dynamic_stack 0
		.amdhsa_enable_private_segment 0
		.amdhsa_system_sgpr_workgroup_id_x 1
		.amdhsa_system_sgpr_workgroup_id_y 0
		.amdhsa_system_sgpr_workgroup_id_z 0
		.amdhsa_system_sgpr_workgroup_info 0
		.amdhsa_system_vgpr_workitem_id 0
		.amdhsa_next_free_vgpr 1
		.amdhsa_next_free_sgpr 0
		.amdhsa_accum_offset 4
		.amdhsa_reserve_vcc 0
		.amdhsa_float_round_mode_32 0
		.amdhsa_float_round_mode_16_64 0
		.amdhsa_float_denorm_mode_32 3
		.amdhsa_float_denorm_mode_16_64 3
		.amdhsa_dx10_clamp 1
		.amdhsa_ieee_mode 1
		.amdhsa_fp16_overflow 0
		.amdhsa_tg_split 0
		.amdhsa_exception_fp_ieee_invalid_op 0
		.amdhsa_exception_fp_denorm_src 0
		.amdhsa_exception_fp_ieee_div_zero 0
		.amdhsa_exception_fp_ieee_overflow 0
		.amdhsa_exception_fp_ieee_underflow 0
		.amdhsa_exception_fp_ieee_inexact 0
		.amdhsa_exception_int_div_zero 0
	.end_amdhsa_kernel
	.section	.text._ZN7rocprim17ROCPRIM_400000_NS6detail17trampoline_kernelINS0_14default_configENS1_38merge_sort_block_merge_config_selectorIN6thrust23THRUST_200600_302600_NS5tupleIffNS6_9null_typeES8_S8_S8_S8_S8_S8_S8_EENS0_10empty_typeEEEZZNS1_27merge_sort_block_merge_implIS3_NS6_6detail15normal_iteratorINS6_10device_ptrIS9_EEEEPSA_mNS6_4lessIS9_EEEE10hipError_tT0_T1_T2_jT3_P12ihipStream_tbPNSt15iterator_traitsISM_E10value_typeEPNSS_ISN_E10value_typeEPSO_NS1_7vsmem_tEENKUlT_SM_SN_SO_E_clISH_PS9_SI_SI_EESL_S11_SM_SN_SO_EUlS11_E1_NS1_11comp_targetILNS1_3genE9ELNS1_11target_archE1100ELNS1_3gpuE3ELNS1_3repE0EEENS1_36merge_oddeven_config_static_selectorELNS0_4arch9wavefront6targetE1EEEvSN_,"axG",@progbits,_ZN7rocprim17ROCPRIM_400000_NS6detail17trampoline_kernelINS0_14default_configENS1_38merge_sort_block_merge_config_selectorIN6thrust23THRUST_200600_302600_NS5tupleIffNS6_9null_typeES8_S8_S8_S8_S8_S8_S8_EENS0_10empty_typeEEEZZNS1_27merge_sort_block_merge_implIS3_NS6_6detail15normal_iteratorINS6_10device_ptrIS9_EEEEPSA_mNS6_4lessIS9_EEEE10hipError_tT0_T1_T2_jT3_P12ihipStream_tbPNSt15iterator_traitsISM_E10value_typeEPNSS_ISN_E10value_typeEPSO_NS1_7vsmem_tEENKUlT_SM_SN_SO_E_clISH_PS9_SI_SI_EESL_S11_SM_SN_SO_EUlS11_E1_NS1_11comp_targetILNS1_3genE9ELNS1_11target_archE1100ELNS1_3gpuE3ELNS1_3repE0EEENS1_36merge_oddeven_config_static_selectorELNS0_4arch9wavefront6targetE1EEEvSN_,comdat
.Lfunc_end73:
	.size	_ZN7rocprim17ROCPRIM_400000_NS6detail17trampoline_kernelINS0_14default_configENS1_38merge_sort_block_merge_config_selectorIN6thrust23THRUST_200600_302600_NS5tupleIffNS6_9null_typeES8_S8_S8_S8_S8_S8_S8_EENS0_10empty_typeEEEZZNS1_27merge_sort_block_merge_implIS3_NS6_6detail15normal_iteratorINS6_10device_ptrIS9_EEEEPSA_mNS6_4lessIS9_EEEE10hipError_tT0_T1_T2_jT3_P12ihipStream_tbPNSt15iterator_traitsISM_E10value_typeEPNSS_ISN_E10value_typeEPSO_NS1_7vsmem_tEENKUlT_SM_SN_SO_E_clISH_PS9_SI_SI_EESL_S11_SM_SN_SO_EUlS11_E1_NS1_11comp_targetILNS1_3genE9ELNS1_11target_archE1100ELNS1_3gpuE3ELNS1_3repE0EEENS1_36merge_oddeven_config_static_selectorELNS0_4arch9wavefront6targetE1EEEvSN_, .Lfunc_end73-_ZN7rocprim17ROCPRIM_400000_NS6detail17trampoline_kernelINS0_14default_configENS1_38merge_sort_block_merge_config_selectorIN6thrust23THRUST_200600_302600_NS5tupleIffNS6_9null_typeES8_S8_S8_S8_S8_S8_S8_EENS0_10empty_typeEEEZZNS1_27merge_sort_block_merge_implIS3_NS6_6detail15normal_iteratorINS6_10device_ptrIS9_EEEEPSA_mNS6_4lessIS9_EEEE10hipError_tT0_T1_T2_jT3_P12ihipStream_tbPNSt15iterator_traitsISM_E10value_typeEPNSS_ISN_E10value_typeEPSO_NS1_7vsmem_tEENKUlT_SM_SN_SO_E_clISH_PS9_SI_SI_EESL_S11_SM_SN_SO_EUlS11_E1_NS1_11comp_targetILNS1_3genE9ELNS1_11target_archE1100ELNS1_3gpuE3ELNS1_3repE0EEENS1_36merge_oddeven_config_static_selectorELNS0_4arch9wavefront6targetE1EEEvSN_
                                        ; -- End function
	.section	.AMDGPU.csdata,"",@progbits
; Kernel info:
; codeLenInByte = 0
; NumSgprs: 6
; NumVgprs: 0
; NumAgprs: 0
; TotalNumVgprs: 0
; ScratchSize: 0
; MemoryBound: 0
; FloatMode: 240
; IeeeMode: 1
; LDSByteSize: 0 bytes/workgroup (compile time only)
; SGPRBlocks: 0
; VGPRBlocks: 0
; NumSGPRsForWavesPerEU: 6
; NumVGPRsForWavesPerEU: 1
; AccumOffset: 4
; Occupancy: 8
; WaveLimiterHint : 0
; COMPUTE_PGM_RSRC2:SCRATCH_EN: 0
; COMPUTE_PGM_RSRC2:USER_SGPR: 2
; COMPUTE_PGM_RSRC2:TRAP_HANDLER: 0
; COMPUTE_PGM_RSRC2:TGID_X_EN: 1
; COMPUTE_PGM_RSRC2:TGID_Y_EN: 0
; COMPUTE_PGM_RSRC2:TGID_Z_EN: 0
; COMPUTE_PGM_RSRC2:TIDIG_COMP_CNT: 0
; COMPUTE_PGM_RSRC3_GFX90A:ACCUM_OFFSET: 0
; COMPUTE_PGM_RSRC3_GFX90A:TG_SPLIT: 0
	.section	.text._ZN7rocprim17ROCPRIM_400000_NS6detail17trampoline_kernelINS0_14default_configENS1_38merge_sort_block_merge_config_selectorIN6thrust23THRUST_200600_302600_NS5tupleIffNS6_9null_typeES8_S8_S8_S8_S8_S8_S8_EENS0_10empty_typeEEEZZNS1_27merge_sort_block_merge_implIS3_NS6_6detail15normal_iteratorINS6_10device_ptrIS9_EEEEPSA_mNS6_4lessIS9_EEEE10hipError_tT0_T1_T2_jT3_P12ihipStream_tbPNSt15iterator_traitsISM_E10value_typeEPNSS_ISN_E10value_typeEPSO_NS1_7vsmem_tEENKUlT_SM_SN_SO_E_clISH_PS9_SI_SI_EESL_S11_SM_SN_SO_EUlS11_E1_NS1_11comp_targetILNS1_3genE8ELNS1_11target_archE1030ELNS1_3gpuE2ELNS1_3repE0EEENS1_36merge_oddeven_config_static_selectorELNS0_4arch9wavefront6targetE1EEEvSN_,"axG",@progbits,_ZN7rocprim17ROCPRIM_400000_NS6detail17trampoline_kernelINS0_14default_configENS1_38merge_sort_block_merge_config_selectorIN6thrust23THRUST_200600_302600_NS5tupleIffNS6_9null_typeES8_S8_S8_S8_S8_S8_S8_EENS0_10empty_typeEEEZZNS1_27merge_sort_block_merge_implIS3_NS6_6detail15normal_iteratorINS6_10device_ptrIS9_EEEEPSA_mNS6_4lessIS9_EEEE10hipError_tT0_T1_T2_jT3_P12ihipStream_tbPNSt15iterator_traitsISM_E10value_typeEPNSS_ISN_E10value_typeEPSO_NS1_7vsmem_tEENKUlT_SM_SN_SO_E_clISH_PS9_SI_SI_EESL_S11_SM_SN_SO_EUlS11_E1_NS1_11comp_targetILNS1_3genE8ELNS1_11target_archE1030ELNS1_3gpuE2ELNS1_3repE0EEENS1_36merge_oddeven_config_static_selectorELNS0_4arch9wavefront6targetE1EEEvSN_,comdat
	.protected	_ZN7rocprim17ROCPRIM_400000_NS6detail17trampoline_kernelINS0_14default_configENS1_38merge_sort_block_merge_config_selectorIN6thrust23THRUST_200600_302600_NS5tupleIffNS6_9null_typeES8_S8_S8_S8_S8_S8_S8_EENS0_10empty_typeEEEZZNS1_27merge_sort_block_merge_implIS3_NS6_6detail15normal_iteratorINS6_10device_ptrIS9_EEEEPSA_mNS6_4lessIS9_EEEE10hipError_tT0_T1_T2_jT3_P12ihipStream_tbPNSt15iterator_traitsISM_E10value_typeEPNSS_ISN_E10value_typeEPSO_NS1_7vsmem_tEENKUlT_SM_SN_SO_E_clISH_PS9_SI_SI_EESL_S11_SM_SN_SO_EUlS11_E1_NS1_11comp_targetILNS1_3genE8ELNS1_11target_archE1030ELNS1_3gpuE2ELNS1_3repE0EEENS1_36merge_oddeven_config_static_selectorELNS0_4arch9wavefront6targetE1EEEvSN_ ; -- Begin function _ZN7rocprim17ROCPRIM_400000_NS6detail17trampoline_kernelINS0_14default_configENS1_38merge_sort_block_merge_config_selectorIN6thrust23THRUST_200600_302600_NS5tupleIffNS6_9null_typeES8_S8_S8_S8_S8_S8_S8_EENS0_10empty_typeEEEZZNS1_27merge_sort_block_merge_implIS3_NS6_6detail15normal_iteratorINS6_10device_ptrIS9_EEEEPSA_mNS6_4lessIS9_EEEE10hipError_tT0_T1_T2_jT3_P12ihipStream_tbPNSt15iterator_traitsISM_E10value_typeEPNSS_ISN_E10value_typeEPSO_NS1_7vsmem_tEENKUlT_SM_SN_SO_E_clISH_PS9_SI_SI_EESL_S11_SM_SN_SO_EUlS11_E1_NS1_11comp_targetILNS1_3genE8ELNS1_11target_archE1030ELNS1_3gpuE2ELNS1_3repE0EEENS1_36merge_oddeven_config_static_selectorELNS0_4arch9wavefront6targetE1EEEvSN_
	.globl	_ZN7rocprim17ROCPRIM_400000_NS6detail17trampoline_kernelINS0_14default_configENS1_38merge_sort_block_merge_config_selectorIN6thrust23THRUST_200600_302600_NS5tupleIffNS6_9null_typeES8_S8_S8_S8_S8_S8_S8_EENS0_10empty_typeEEEZZNS1_27merge_sort_block_merge_implIS3_NS6_6detail15normal_iteratorINS6_10device_ptrIS9_EEEEPSA_mNS6_4lessIS9_EEEE10hipError_tT0_T1_T2_jT3_P12ihipStream_tbPNSt15iterator_traitsISM_E10value_typeEPNSS_ISN_E10value_typeEPSO_NS1_7vsmem_tEENKUlT_SM_SN_SO_E_clISH_PS9_SI_SI_EESL_S11_SM_SN_SO_EUlS11_E1_NS1_11comp_targetILNS1_3genE8ELNS1_11target_archE1030ELNS1_3gpuE2ELNS1_3repE0EEENS1_36merge_oddeven_config_static_selectorELNS0_4arch9wavefront6targetE1EEEvSN_
	.p2align	8
	.type	_ZN7rocprim17ROCPRIM_400000_NS6detail17trampoline_kernelINS0_14default_configENS1_38merge_sort_block_merge_config_selectorIN6thrust23THRUST_200600_302600_NS5tupleIffNS6_9null_typeES8_S8_S8_S8_S8_S8_S8_EENS0_10empty_typeEEEZZNS1_27merge_sort_block_merge_implIS3_NS6_6detail15normal_iteratorINS6_10device_ptrIS9_EEEEPSA_mNS6_4lessIS9_EEEE10hipError_tT0_T1_T2_jT3_P12ihipStream_tbPNSt15iterator_traitsISM_E10value_typeEPNSS_ISN_E10value_typeEPSO_NS1_7vsmem_tEENKUlT_SM_SN_SO_E_clISH_PS9_SI_SI_EESL_S11_SM_SN_SO_EUlS11_E1_NS1_11comp_targetILNS1_3genE8ELNS1_11target_archE1030ELNS1_3gpuE2ELNS1_3repE0EEENS1_36merge_oddeven_config_static_selectorELNS0_4arch9wavefront6targetE1EEEvSN_,@function
_ZN7rocprim17ROCPRIM_400000_NS6detail17trampoline_kernelINS0_14default_configENS1_38merge_sort_block_merge_config_selectorIN6thrust23THRUST_200600_302600_NS5tupleIffNS6_9null_typeES8_S8_S8_S8_S8_S8_S8_EENS0_10empty_typeEEEZZNS1_27merge_sort_block_merge_implIS3_NS6_6detail15normal_iteratorINS6_10device_ptrIS9_EEEEPSA_mNS6_4lessIS9_EEEE10hipError_tT0_T1_T2_jT3_P12ihipStream_tbPNSt15iterator_traitsISM_E10value_typeEPNSS_ISN_E10value_typeEPSO_NS1_7vsmem_tEENKUlT_SM_SN_SO_E_clISH_PS9_SI_SI_EESL_S11_SM_SN_SO_EUlS11_E1_NS1_11comp_targetILNS1_3genE8ELNS1_11target_archE1030ELNS1_3gpuE2ELNS1_3repE0EEENS1_36merge_oddeven_config_static_selectorELNS0_4arch9wavefront6targetE1EEEvSN_: ; @_ZN7rocprim17ROCPRIM_400000_NS6detail17trampoline_kernelINS0_14default_configENS1_38merge_sort_block_merge_config_selectorIN6thrust23THRUST_200600_302600_NS5tupleIffNS6_9null_typeES8_S8_S8_S8_S8_S8_S8_EENS0_10empty_typeEEEZZNS1_27merge_sort_block_merge_implIS3_NS6_6detail15normal_iteratorINS6_10device_ptrIS9_EEEEPSA_mNS6_4lessIS9_EEEE10hipError_tT0_T1_T2_jT3_P12ihipStream_tbPNSt15iterator_traitsISM_E10value_typeEPNSS_ISN_E10value_typeEPSO_NS1_7vsmem_tEENKUlT_SM_SN_SO_E_clISH_PS9_SI_SI_EESL_S11_SM_SN_SO_EUlS11_E1_NS1_11comp_targetILNS1_3genE8ELNS1_11target_archE1030ELNS1_3gpuE2ELNS1_3repE0EEENS1_36merge_oddeven_config_static_selectorELNS0_4arch9wavefront6targetE1EEEvSN_
; %bb.0:
	.section	.rodata,"a",@progbits
	.p2align	6, 0x0
	.amdhsa_kernel _ZN7rocprim17ROCPRIM_400000_NS6detail17trampoline_kernelINS0_14default_configENS1_38merge_sort_block_merge_config_selectorIN6thrust23THRUST_200600_302600_NS5tupleIffNS6_9null_typeES8_S8_S8_S8_S8_S8_S8_EENS0_10empty_typeEEEZZNS1_27merge_sort_block_merge_implIS3_NS6_6detail15normal_iteratorINS6_10device_ptrIS9_EEEEPSA_mNS6_4lessIS9_EEEE10hipError_tT0_T1_T2_jT3_P12ihipStream_tbPNSt15iterator_traitsISM_E10value_typeEPNSS_ISN_E10value_typeEPSO_NS1_7vsmem_tEENKUlT_SM_SN_SO_E_clISH_PS9_SI_SI_EESL_S11_SM_SN_SO_EUlS11_E1_NS1_11comp_targetILNS1_3genE8ELNS1_11target_archE1030ELNS1_3gpuE2ELNS1_3repE0EEENS1_36merge_oddeven_config_static_selectorELNS0_4arch9wavefront6targetE1EEEvSN_
		.amdhsa_group_segment_fixed_size 0
		.amdhsa_private_segment_fixed_size 0
		.amdhsa_kernarg_size 56
		.amdhsa_user_sgpr_count 2
		.amdhsa_user_sgpr_dispatch_ptr 0
		.amdhsa_user_sgpr_queue_ptr 0
		.amdhsa_user_sgpr_kernarg_segment_ptr 1
		.amdhsa_user_sgpr_dispatch_id 0
		.amdhsa_user_sgpr_kernarg_preload_length 0
		.amdhsa_user_sgpr_kernarg_preload_offset 0
		.amdhsa_user_sgpr_private_segment_size 0
		.amdhsa_uses_dynamic_stack 0
		.amdhsa_enable_private_segment 0
		.amdhsa_system_sgpr_workgroup_id_x 1
		.amdhsa_system_sgpr_workgroup_id_y 0
		.amdhsa_system_sgpr_workgroup_id_z 0
		.amdhsa_system_sgpr_workgroup_info 0
		.amdhsa_system_vgpr_workitem_id 0
		.amdhsa_next_free_vgpr 1
		.amdhsa_next_free_sgpr 0
		.amdhsa_accum_offset 4
		.amdhsa_reserve_vcc 0
		.amdhsa_float_round_mode_32 0
		.amdhsa_float_round_mode_16_64 0
		.amdhsa_float_denorm_mode_32 3
		.amdhsa_float_denorm_mode_16_64 3
		.amdhsa_dx10_clamp 1
		.amdhsa_ieee_mode 1
		.amdhsa_fp16_overflow 0
		.amdhsa_tg_split 0
		.amdhsa_exception_fp_ieee_invalid_op 0
		.amdhsa_exception_fp_denorm_src 0
		.amdhsa_exception_fp_ieee_div_zero 0
		.amdhsa_exception_fp_ieee_overflow 0
		.amdhsa_exception_fp_ieee_underflow 0
		.amdhsa_exception_fp_ieee_inexact 0
		.amdhsa_exception_int_div_zero 0
	.end_amdhsa_kernel
	.section	.text._ZN7rocprim17ROCPRIM_400000_NS6detail17trampoline_kernelINS0_14default_configENS1_38merge_sort_block_merge_config_selectorIN6thrust23THRUST_200600_302600_NS5tupleIffNS6_9null_typeES8_S8_S8_S8_S8_S8_S8_EENS0_10empty_typeEEEZZNS1_27merge_sort_block_merge_implIS3_NS6_6detail15normal_iteratorINS6_10device_ptrIS9_EEEEPSA_mNS6_4lessIS9_EEEE10hipError_tT0_T1_T2_jT3_P12ihipStream_tbPNSt15iterator_traitsISM_E10value_typeEPNSS_ISN_E10value_typeEPSO_NS1_7vsmem_tEENKUlT_SM_SN_SO_E_clISH_PS9_SI_SI_EESL_S11_SM_SN_SO_EUlS11_E1_NS1_11comp_targetILNS1_3genE8ELNS1_11target_archE1030ELNS1_3gpuE2ELNS1_3repE0EEENS1_36merge_oddeven_config_static_selectorELNS0_4arch9wavefront6targetE1EEEvSN_,"axG",@progbits,_ZN7rocprim17ROCPRIM_400000_NS6detail17trampoline_kernelINS0_14default_configENS1_38merge_sort_block_merge_config_selectorIN6thrust23THRUST_200600_302600_NS5tupleIffNS6_9null_typeES8_S8_S8_S8_S8_S8_S8_EENS0_10empty_typeEEEZZNS1_27merge_sort_block_merge_implIS3_NS6_6detail15normal_iteratorINS6_10device_ptrIS9_EEEEPSA_mNS6_4lessIS9_EEEE10hipError_tT0_T1_T2_jT3_P12ihipStream_tbPNSt15iterator_traitsISM_E10value_typeEPNSS_ISN_E10value_typeEPSO_NS1_7vsmem_tEENKUlT_SM_SN_SO_E_clISH_PS9_SI_SI_EESL_S11_SM_SN_SO_EUlS11_E1_NS1_11comp_targetILNS1_3genE8ELNS1_11target_archE1030ELNS1_3gpuE2ELNS1_3repE0EEENS1_36merge_oddeven_config_static_selectorELNS0_4arch9wavefront6targetE1EEEvSN_,comdat
.Lfunc_end74:
	.size	_ZN7rocprim17ROCPRIM_400000_NS6detail17trampoline_kernelINS0_14default_configENS1_38merge_sort_block_merge_config_selectorIN6thrust23THRUST_200600_302600_NS5tupleIffNS6_9null_typeES8_S8_S8_S8_S8_S8_S8_EENS0_10empty_typeEEEZZNS1_27merge_sort_block_merge_implIS3_NS6_6detail15normal_iteratorINS6_10device_ptrIS9_EEEEPSA_mNS6_4lessIS9_EEEE10hipError_tT0_T1_T2_jT3_P12ihipStream_tbPNSt15iterator_traitsISM_E10value_typeEPNSS_ISN_E10value_typeEPSO_NS1_7vsmem_tEENKUlT_SM_SN_SO_E_clISH_PS9_SI_SI_EESL_S11_SM_SN_SO_EUlS11_E1_NS1_11comp_targetILNS1_3genE8ELNS1_11target_archE1030ELNS1_3gpuE2ELNS1_3repE0EEENS1_36merge_oddeven_config_static_selectorELNS0_4arch9wavefront6targetE1EEEvSN_, .Lfunc_end74-_ZN7rocprim17ROCPRIM_400000_NS6detail17trampoline_kernelINS0_14default_configENS1_38merge_sort_block_merge_config_selectorIN6thrust23THRUST_200600_302600_NS5tupleIffNS6_9null_typeES8_S8_S8_S8_S8_S8_S8_EENS0_10empty_typeEEEZZNS1_27merge_sort_block_merge_implIS3_NS6_6detail15normal_iteratorINS6_10device_ptrIS9_EEEEPSA_mNS6_4lessIS9_EEEE10hipError_tT0_T1_T2_jT3_P12ihipStream_tbPNSt15iterator_traitsISM_E10value_typeEPNSS_ISN_E10value_typeEPSO_NS1_7vsmem_tEENKUlT_SM_SN_SO_E_clISH_PS9_SI_SI_EESL_S11_SM_SN_SO_EUlS11_E1_NS1_11comp_targetILNS1_3genE8ELNS1_11target_archE1030ELNS1_3gpuE2ELNS1_3repE0EEENS1_36merge_oddeven_config_static_selectorELNS0_4arch9wavefront6targetE1EEEvSN_
                                        ; -- End function
	.section	.AMDGPU.csdata,"",@progbits
; Kernel info:
; codeLenInByte = 0
; NumSgprs: 6
; NumVgprs: 0
; NumAgprs: 0
; TotalNumVgprs: 0
; ScratchSize: 0
; MemoryBound: 0
; FloatMode: 240
; IeeeMode: 1
; LDSByteSize: 0 bytes/workgroup (compile time only)
; SGPRBlocks: 0
; VGPRBlocks: 0
; NumSGPRsForWavesPerEU: 6
; NumVGPRsForWavesPerEU: 1
; AccumOffset: 4
; Occupancy: 8
; WaveLimiterHint : 0
; COMPUTE_PGM_RSRC2:SCRATCH_EN: 0
; COMPUTE_PGM_RSRC2:USER_SGPR: 2
; COMPUTE_PGM_RSRC2:TRAP_HANDLER: 0
; COMPUTE_PGM_RSRC2:TGID_X_EN: 1
; COMPUTE_PGM_RSRC2:TGID_Y_EN: 0
; COMPUTE_PGM_RSRC2:TGID_Z_EN: 0
; COMPUTE_PGM_RSRC2:TIDIG_COMP_CNT: 0
; COMPUTE_PGM_RSRC3_GFX90A:ACCUM_OFFSET: 0
; COMPUTE_PGM_RSRC3_GFX90A:TG_SPLIT: 0
	.section	.text._ZN7rocprim17ROCPRIM_400000_NS6detail17trampoline_kernelINS0_14default_configENS1_25transform_config_selectorIN6thrust23THRUST_200600_302600_NS5tupleIffNS6_9null_typeES8_S8_S8_S8_S8_S8_S8_EELb0EEEZNS1_14transform_implILb0ES3_SA_PS9_NS6_6detail15normal_iteratorINS6_10device_ptrIS9_EEEENS0_8identityIS9_EEEE10hipError_tT2_T3_mT4_P12ihipStream_tbEUlT_E_NS1_11comp_targetILNS1_3genE0ELNS1_11target_archE4294967295ELNS1_3gpuE0ELNS1_3repE0EEENS1_30default_config_static_selectorELNS0_4arch9wavefront6targetE1EEEvT1_,"axG",@progbits,_ZN7rocprim17ROCPRIM_400000_NS6detail17trampoline_kernelINS0_14default_configENS1_25transform_config_selectorIN6thrust23THRUST_200600_302600_NS5tupleIffNS6_9null_typeES8_S8_S8_S8_S8_S8_S8_EELb0EEEZNS1_14transform_implILb0ES3_SA_PS9_NS6_6detail15normal_iteratorINS6_10device_ptrIS9_EEEENS0_8identityIS9_EEEE10hipError_tT2_T3_mT4_P12ihipStream_tbEUlT_E_NS1_11comp_targetILNS1_3genE0ELNS1_11target_archE4294967295ELNS1_3gpuE0ELNS1_3repE0EEENS1_30default_config_static_selectorELNS0_4arch9wavefront6targetE1EEEvT1_,comdat
	.protected	_ZN7rocprim17ROCPRIM_400000_NS6detail17trampoline_kernelINS0_14default_configENS1_25transform_config_selectorIN6thrust23THRUST_200600_302600_NS5tupleIffNS6_9null_typeES8_S8_S8_S8_S8_S8_S8_EELb0EEEZNS1_14transform_implILb0ES3_SA_PS9_NS6_6detail15normal_iteratorINS6_10device_ptrIS9_EEEENS0_8identityIS9_EEEE10hipError_tT2_T3_mT4_P12ihipStream_tbEUlT_E_NS1_11comp_targetILNS1_3genE0ELNS1_11target_archE4294967295ELNS1_3gpuE0ELNS1_3repE0EEENS1_30default_config_static_selectorELNS0_4arch9wavefront6targetE1EEEvT1_ ; -- Begin function _ZN7rocprim17ROCPRIM_400000_NS6detail17trampoline_kernelINS0_14default_configENS1_25transform_config_selectorIN6thrust23THRUST_200600_302600_NS5tupleIffNS6_9null_typeES8_S8_S8_S8_S8_S8_S8_EELb0EEEZNS1_14transform_implILb0ES3_SA_PS9_NS6_6detail15normal_iteratorINS6_10device_ptrIS9_EEEENS0_8identityIS9_EEEE10hipError_tT2_T3_mT4_P12ihipStream_tbEUlT_E_NS1_11comp_targetILNS1_3genE0ELNS1_11target_archE4294967295ELNS1_3gpuE0ELNS1_3repE0EEENS1_30default_config_static_selectorELNS0_4arch9wavefront6targetE1EEEvT1_
	.globl	_ZN7rocprim17ROCPRIM_400000_NS6detail17trampoline_kernelINS0_14default_configENS1_25transform_config_selectorIN6thrust23THRUST_200600_302600_NS5tupleIffNS6_9null_typeES8_S8_S8_S8_S8_S8_S8_EELb0EEEZNS1_14transform_implILb0ES3_SA_PS9_NS6_6detail15normal_iteratorINS6_10device_ptrIS9_EEEENS0_8identityIS9_EEEE10hipError_tT2_T3_mT4_P12ihipStream_tbEUlT_E_NS1_11comp_targetILNS1_3genE0ELNS1_11target_archE4294967295ELNS1_3gpuE0ELNS1_3repE0EEENS1_30default_config_static_selectorELNS0_4arch9wavefront6targetE1EEEvT1_
	.p2align	8
	.type	_ZN7rocprim17ROCPRIM_400000_NS6detail17trampoline_kernelINS0_14default_configENS1_25transform_config_selectorIN6thrust23THRUST_200600_302600_NS5tupleIffNS6_9null_typeES8_S8_S8_S8_S8_S8_S8_EELb0EEEZNS1_14transform_implILb0ES3_SA_PS9_NS6_6detail15normal_iteratorINS6_10device_ptrIS9_EEEENS0_8identityIS9_EEEE10hipError_tT2_T3_mT4_P12ihipStream_tbEUlT_E_NS1_11comp_targetILNS1_3genE0ELNS1_11target_archE4294967295ELNS1_3gpuE0ELNS1_3repE0EEENS1_30default_config_static_selectorELNS0_4arch9wavefront6targetE1EEEvT1_,@function
_ZN7rocprim17ROCPRIM_400000_NS6detail17trampoline_kernelINS0_14default_configENS1_25transform_config_selectorIN6thrust23THRUST_200600_302600_NS5tupleIffNS6_9null_typeES8_S8_S8_S8_S8_S8_S8_EELb0EEEZNS1_14transform_implILb0ES3_SA_PS9_NS6_6detail15normal_iteratorINS6_10device_ptrIS9_EEEENS0_8identityIS9_EEEE10hipError_tT2_T3_mT4_P12ihipStream_tbEUlT_E_NS1_11comp_targetILNS1_3genE0ELNS1_11target_archE4294967295ELNS1_3gpuE0ELNS1_3repE0EEENS1_30default_config_static_selectorELNS0_4arch9wavefront6targetE1EEEvT1_: ; @_ZN7rocprim17ROCPRIM_400000_NS6detail17trampoline_kernelINS0_14default_configENS1_25transform_config_selectorIN6thrust23THRUST_200600_302600_NS5tupleIffNS6_9null_typeES8_S8_S8_S8_S8_S8_S8_EELb0EEEZNS1_14transform_implILb0ES3_SA_PS9_NS6_6detail15normal_iteratorINS6_10device_ptrIS9_EEEENS0_8identityIS9_EEEE10hipError_tT2_T3_mT4_P12ihipStream_tbEUlT_E_NS1_11comp_targetILNS1_3genE0ELNS1_11target_archE4294967295ELNS1_3gpuE0ELNS1_3repE0EEENS1_30default_config_static_selectorELNS0_4arch9wavefront6targetE1EEEvT1_
; %bb.0:
	.section	.rodata,"a",@progbits
	.p2align	6, 0x0
	.amdhsa_kernel _ZN7rocprim17ROCPRIM_400000_NS6detail17trampoline_kernelINS0_14default_configENS1_25transform_config_selectorIN6thrust23THRUST_200600_302600_NS5tupleIffNS6_9null_typeES8_S8_S8_S8_S8_S8_S8_EELb0EEEZNS1_14transform_implILb0ES3_SA_PS9_NS6_6detail15normal_iteratorINS6_10device_ptrIS9_EEEENS0_8identityIS9_EEEE10hipError_tT2_T3_mT4_P12ihipStream_tbEUlT_E_NS1_11comp_targetILNS1_3genE0ELNS1_11target_archE4294967295ELNS1_3gpuE0ELNS1_3repE0EEENS1_30default_config_static_selectorELNS0_4arch9wavefront6targetE1EEEvT1_
		.amdhsa_group_segment_fixed_size 0
		.amdhsa_private_segment_fixed_size 0
		.amdhsa_kernarg_size 40
		.amdhsa_user_sgpr_count 2
		.amdhsa_user_sgpr_dispatch_ptr 0
		.amdhsa_user_sgpr_queue_ptr 0
		.amdhsa_user_sgpr_kernarg_segment_ptr 1
		.amdhsa_user_sgpr_dispatch_id 0
		.amdhsa_user_sgpr_kernarg_preload_length 0
		.amdhsa_user_sgpr_kernarg_preload_offset 0
		.amdhsa_user_sgpr_private_segment_size 0
		.amdhsa_uses_dynamic_stack 0
		.amdhsa_enable_private_segment 0
		.amdhsa_system_sgpr_workgroup_id_x 1
		.amdhsa_system_sgpr_workgroup_id_y 0
		.amdhsa_system_sgpr_workgroup_id_z 0
		.amdhsa_system_sgpr_workgroup_info 0
		.amdhsa_system_vgpr_workitem_id 0
		.amdhsa_next_free_vgpr 1
		.amdhsa_next_free_sgpr 0
		.amdhsa_accum_offset 4
		.amdhsa_reserve_vcc 0
		.amdhsa_float_round_mode_32 0
		.amdhsa_float_round_mode_16_64 0
		.amdhsa_float_denorm_mode_32 3
		.amdhsa_float_denorm_mode_16_64 3
		.amdhsa_dx10_clamp 1
		.amdhsa_ieee_mode 1
		.amdhsa_fp16_overflow 0
		.amdhsa_tg_split 0
		.amdhsa_exception_fp_ieee_invalid_op 0
		.amdhsa_exception_fp_denorm_src 0
		.amdhsa_exception_fp_ieee_div_zero 0
		.amdhsa_exception_fp_ieee_overflow 0
		.amdhsa_exception_fp_ieee_underflow 0
		.amdhsa_exception_fp_ieee_inexact 0
		.amdhsa_exception_int_div_zero 0
	.end_amdhsa_kernel
	.section	.text._ZN7rocprim17ROCPRIM_400000_NS6detail17trampoline_kernelINS0_14default_configENS1_25transform_config_selectorIN6thrust23THRUST_200600_302600_NS5tupleIffNS6_9null_typeES8_S8_S8_S8_S8_S8_S8_EELb0EEEZNS1_14transform_implILb0ES3_SA_PS9_NS6_6detail15normal_iteratorINS6_10device_ptrIS9_EEEENS0_8identityIS9_EEEE10hipError_tT2_T3_mT4_P12ihipStream_tbEUlT_E_NS1_11comp_targetILNS1_3genE0ELNS1_11target_archE4294967295ELNS1_3gpuE0ELNS1_3repE0EEENS1_30default_config_static_selectorELNS0_4arch9wavefront6targetE1EEEvT1_,"axG",@progbits,_ZN7rocprim17ROCPRIM_400000_NS6detail17trampoline_kernelINS0_14default_configENS1_25transform_config_selectorIN6thrust23THRUST_200600_302600_NS5tupleIffNS6_9null_typeES8_S8_S8_S8_S8_S8_S8_EELb0EEEZNS1_14transform_implILb0ES3_SA_PS9_NS6_6detail15normal_iteratorINS6_10device_ptrIS9_EEEENS0_8identityIS9_EEEE10hipError_tT2_T3_mT4_P12ihipStream_tbEUlT_E_NS1_11comp_targetILNS1_3genE0ELNS1_11target_archE4294967295ELNS1_3gpuE0ELNS1_3repE0EEENS1_30default_config_static_selectorELNS0_4arch9wavefront6targetE1EEEvT1_,comdat
.Lfunc_end75:
	.size	_ZN7rocprim17ROCPRIM_400000_NS6detail17trampoline_kernelINS0_14default_configENS1_25transform_config_selectorIN6thrust23THRUST_200600_302600_NS5tupleIffNS6_9null_typeES8_S8_S8_S8_S8_S8_S8_EELb0EEEZNS1_14transform_implILb0ES3_SA_PS9_NS6_6detail15normal_iteratorINS6_10device_ptrIS9_EEEENS0_8identityIS9_EEEE10hipError_tT2_T3_mT4_P12ihipStream_tbEUlT_E_NS1_11comp_targetILNS1_3genE0ELNS1_11target_archE4294967295ELNS1_3gpuE0ELNS1_3repE0EEENS1_30default_config_static_selectorELNS0_4arch9wavefront6targetE1EEEvT1_, .Lfunc_end75-_ZN7rocprim17ROCPRIM_400000_NS6detail17trampoline_kernelINS0_14default_configENS1_25transform_config_selectorIN6thrust23THRUST_200600_302600_NS5tupleIffNS6_9null_typeES8_S8_S8_S8_S8_S8_S8_EELb0EEEZNS1_14transform_implILb0ES3_SA_PS9_NS6_6detail15normal_iteratorINS6_10device_ptrIS9_EEEENS0_8identityIS9_EEEE10hipError_tT2_T3_mT4_P12ihipStream_tbEUlT_E_NS1_11comp_targetILNS1_3genE0ELNS1_11target_archE4294967295ELNS1_3gpuE0ELNS1_3repE0EEENS1_30default_config_static_selectorELNS0_4arch9wavefront6targetE1EEEvT1_
                                        ; -- End function
	.section	.AMDGPU.csdata,"",@progbits
; Kernel info:
; codeLenInByte = 0
; NumSgprs: 6
; NumVgprs: 0
; NumAgprs: 0
; TotalNumVgprs: 0
; ScratchSize: 0
; MemoryBound: 0
; FloatMode: 240
; IeeeMode: 1
; LDSByteSize: 0 bytes/workgroup (compile time only)
; SGPRBlocks: 0
; VGPRBlocks: 0
; NumSGPRsForWavesPerEU: 6
; NumVGPRsForWavesPerEU: 1
; AccumOffset: 4
; Occupancy: 8
; WaveLimiterHint : 0
; COMPUTE_PGM_RSRC2:SCRATCH_EN: 0
; COMPUTE_PGM_RSRC2:USER_SGPR: 2
; COMPUTE_PGM_RSRC2:TRAP_HANDLER: 0
; COMPUTE_PGM_RSRC2:TGID_X_EN: 1
; COMPUTE_PGM_RSRC2:TGID_Y_EN: 0
; COMPUTE_PGM_RSRC2:TGID_Z_EN: 0
; COMPUTE_PGM_RSRC2:TIDIG_COMP_CNT: 0
; COMPUTE_PGM_RSRC3_GFX90A:ACCUM_OFFSET: 0
; COMPUTE_PGM_RSRC3_GFX90A:TG_SPLIT: 0
	.section	.text._ZN7rocprim17ROCPRIM_400000_NS6detail17trampoline_kernelINS0_14default_configENS1_25transform_config_selectorIN6thrust23THRUST_200600_302600_NS5tupleIffNS6_9null_typeES8_S8_S8_S8_S8_S8_S8_EELb0EEEZNS1_14transform_implILb0ES3_SA_PS9_NS6_6detail15normal_iteratorINS6_10device_ptrIS9_EEEENS0_8identityIS9_EEEE10hipError_tT2_T3_mT4_P12ihipStream_tbEUlT_E_NS1_11comp_targetILNS1_3genE5ELNS1_11target_archE942ELNS1_3gpuE9ELNS1_3repE0EEENS1_30default_config_static_selectorELNS0_4arch9wavefront6targetE1EEEvT1_,"axG",@progbits,_ZN7rocprim17ROCPRIM_400000_NS6detail17trampoline_kernelINS0_14default_configENS1_25transform_config_selectorIN6thrust23THRUST_200600_302600_NS5tupleIffNS6_9null_typeES8_S8_S8_S8_S8_S8_S8_EELb0EEEZNS1_14transform_implILb0ES3_SA_PS9_NS6_6detail15normal_iteratorINS6_10device_ptrIS9_EEEENS0_8identityIS9_EEEE10hipError_tT2_T3_mT4_P12ihipStream_tbEUlT_E_NS1_11comp_targetILNS1_3genE5ELNS1_11target_archE942ELNS1_3gpuE9ELNS1_3repE0EEENS1_30default_config_static_selectorELNS0_4arch9wavefront6targetE1EEEvT1_,comdat
	.protected	_ZN7rocprim17ROCPRIM_400000_NS6detail17trampoline_kernelINS0_14default_configENS1_25transform_config_selectorIN6thrust23THRUST_200600_302600_NS5tupleIffNS6_9null_typeES8_S8_S8_S8_S8_S8_S8_EELb0EEEZNS1_14transform_implILb0ES3_SA_PS9_NS6_6detail15normal_iteratorINS6_10device_ptrIS9_EEEENS0_8identityIS9_EEEE10hipError_tT2_T3_mT4_P12ihipStream_tbEUlT_E_NS1_11comp_targetILNS1_3genE5ELNS1_11target_archE942ELNS1_3gpuE9ELNS1_3repE0EEENS1_30default_config_static_selectorELNS0_4arch9wavefront6targetE1EEEvT1_ ; -- Begin function _ZN7rocprim17ROCPRIM_400000_NS6detail17trampoline_kernelINS0_14default_configENS1_25transform_config_selectorIN6thrust23THRUST_200600_302600_NS5tupleIffNS6_9null_typeES8_S8_S8_S8_S8_S8_S8_EELb0EEEZNS1_14transform_implILb0ES3_SA_PS9_NS6_6detail15normal_iteratorINS6_10device_ptrIS9_EEEENS0_8identityIS9_EEEE10hipError_tT2_T3_mT4_P12ihipStream_tbEUlT_E_NS1_11comp_targetILNS1_3genE5ELNS1_11target_archE942ELNS1_3gpuE9ELNS1_3repE0EEENS1_30default_config_static_selectorELNS0_4arch9wavefront6targetE1EEEvT1_
	.globl	_ZN7rocprim17ROCPRIM_400000_NS6detail17trampoline_kernelINS0_14default_configENS1_25transform_config_selectorIN6thrust23THRUST_200600_302600_NS5tupleIffNS6_9null_typeES8_S8_S8_S8_S8_S8_S8_EELb0EEEZNS1_14transform_implILb0ES3_SA_PS9_NS6_6detail15normal_iteratorINS6_10device_ptrIS9_EEEENS0_8identityIS9_EEEE10hipError_tT2_T3_mT4_P12ihipStream_tbEUlT_E_NS1_11comp_targetILNS1_3genE5ELNS1_11target_archE942ELNS1_3gpuE9ELNS1_3repE0EEENS1_30default_config_static_selectorELNS0_4arch9wavefront6targetE1EEEvT1_
	.p2align	8
	.type	_ZN7rocprim17ROCPRIM_400000_NS6detail17trampoline_kernelINS0_14default_configENS1_25transform_config_selectorIN6thrust23THRUST_200600_302600_NS5tupleIffNS6_9null_typeES8_S8_S8_S8_S8_S8_S8_EELb0EEEZNS1_14transform_implILb0ES3_SA_PS9_NS6_6detail15normal_iteratorINS6_10device_ptrIS9_EEEENS0_8identityIS9_EEEE10hipError_tT2_T3_mT4_P12ihipStream_tbEUlT_E_NS1_11comp_targetILNS1_3genE5ELNS1_11target_archE942ELNS1_3gpuE9ELNS1_3repE0EEENS1_30default_config_static_selectorELNS0_4arch9wavefront6targetE1EEEvT1_,@function
_ZN7rocprim17ROCPRIM_400000_NS6detail17trampoline_kernelINS0_14default_configENS1_25transform_config_selectorIN6thrust23THRUST_200600_302600_NS5tupleIffNS6_9null_typeES8_S8_S8_S8_S8_S8_S8_EELb0EEEZNS1_14transform_implILb0ES3_SA_PS9_NS6_6detail15normal_iteratorINS6_10device_ptrIS9_EEEENS0_8identityIS9_EEEE10hipError_tT2_T3_mT4_P12ihipStream_tbEUlT_E_NS1_11comp_targetILNS1_3genE5ELNS1_11target_archE942ELNS1_3gpuE9ELNS1_3repE0EEENS1_30default_config_static_selectorELNS0_4arch9wavefront6targetE1EEEvT1_: ; @_ZN7rocprim17ROCPRIM_400000_NS6detail17trampoline_kernelINS0_14default_configENS1_25transform_config_selectorIN6thrust23THRUST_200600_302600_NS5tupleIffNS6_9null_typeES8_S8_S8_S8_S8_S8_S8_EELb0EEEZNS1_14transform_implILb0ES3_SA_PS9_NS6_6detail15normal_iteratorINS6_10device_ptrIS9_EEEENS0_8identityIS9_EEEE10hipError_tT2_T3_mT4_P12ihipStream_tbEUlT_E_NS1_11comp_targetILNS1_3genE5ELNS1_11target_archE942ELNS1_3gpuE9ELNS1_3repE0EEENS1_30default_config_static_selectorELNS0_4arch9wavefront6targetE1EEEvT1_
; %bb.0:
	s_load_dwordx8 s[4:11], s[0:1], 0x0
	s_load_dword s3, s[0:1], 0x28
	v_lshlrev_b32_e32 v2, 3, v0
	s_waitcnt lgkmcnt(0)
	s_lshl_b64 s[0:1], s[6:7], 3
	s_add_u32 s6, s4, s0
	s_addc_u32 s7, s5, s1
	s_add_u32 s9, s10, s0
	s_addc_u32 s10, s11, s1
	s_lshl_b32 s0, s2, 10
	s_mov_b32 s1, 0
	s_add_i32 s3, s3, -1
	s_lshl_b64 s[4:5], s[0:1], 3
	s_add_u32 s6, s6, s4
	s_addc_u32 s7, s7, s5
	s_cmp_lg_u32 s2, s3
	s_mov_b64 s[2:3], -1
	s_cbranch_scc0 .LBB76_2
; %bb.1:
	v_mov_b32_e32 v3, 0
	v_lshl_add_u64 v[4:5], s[6:7], 0, v[2:3]
	v_add_co_u32_e32 v4, vcc, 0x1000, v4
	s_add_u32 s2, s9, s4
	s_nop 0
	v_addc_co_u32_e32 v5, vcc, 0, v5, vcc
	global_load_dwordx2 v[6:7], v2, s[6:7]
	global_load_dwordx2 v[8:9], v[4:5], off
	s_addc_u32 s3, s10, s5
	v_lshl_add_u64 v[4:5], s[2:3], 0, v[2:3]
	v_add_co_u32_e32 v10, vcc, 0x1000, v4
	s_mov_b64 s[2:3], 0
	s_nop 0
	v_addc_co_u32_e32 v11, vcc, 0, v5, vcc
	s_waitcnt vmcnt(1)
	flat_store_dwordx2 v[4:5], v[6:7]
	s_waitcnt vmcnt(0)
	flat_store_dwordx2 v[10:11], v[8:9]
.LBB76_2:
	s_andn2_b64 vcc, exec, s[2:3]
	s_cbranch_vccnz .LBB76_11
; %bb.3:
	s_sub_i32 s2, s8, s0
	v_cmp_gt_u32_e32 vcc, s2, v0
	v_mov_b32_e32 v4, 0
	v_mov_b32_e32 v6, 0
	;; [unrolled: 1-line block ×3, first 2 shown]
	s_and_saveexec_b64 s[0:1], vcc
	s_cbranch_execz .LBB76_5
; %bb.4:
	global_load_dwordx2 v[6:7], v2, s[6:7]
.LBB76_5:
	s_or_b64 exec, exec, s[0:1]
	v_or_b32_e32 v0, 0x200, v0
	v_cmp_gt_u32_e64 s[0:1], s2, v0
	v_mov_b32_e32 v5, 0
	s_and_saveexec_b64 s[2:3], s[0:1]
	s_cbranch_execz .LBB76_7
; %bb.6:
	v_lshlrev_b32_e32 v0, 3, v0
	global_load_dwordx2 v[4:5], v0, s[6:7]
.LBB76_7:
	s_or_b64 exec, exec, s[2:3]
	s_add_u32 s2, s9, s4
	s_addc_u32 s3, s10, s5
	v_mov_b32_e32 v3, 0
	v_lshl_add_u64 v[0:1], s[2:3], 0, v[2:3]
	s_and_saveexec_b64 s[2:3], vcc
	s_cbranch_execz .LBB76_9
; %bb.8:
	s_waitcnt vmcnt(0)
	flat_store_dwordx2 v[0:1], v[6:7]
.LBB76_9:
	s_or_b64 exec, exec, s[2:3]
	s_and_saveexec_b64 s[2:3], s[0:1]
	s_cbranch_execz .LBB76_11
; %bb.10:
	v_add_co_u32_e32 v0, vcc, 0x1000, v0
	s_nop 1
	v_addc_co_u32_e32 v1, vcc, 0, v1, vcc
	s_waitcnt vmcnt(0)
	flat_store_dwordx2 v[0:1], v[4:5]
.LBB76_11:
	s_endpgm
	.section	.rodata,"a",@progbits
	.p2align	6, 0x0
	.amdhsa_kernel _ZN7rocprim17ROCPRIM_400000_NS6detail17trampoline_kernelINS0_14default_configENS1_25transform_config_selectorIN6thrust23THRUST_200600_302600_NS5tupleIffNS6_9null_typeES8_S8_S8_S8_S8_S8_S8_EELb0EEEZNS1_14transform_implILb0ES3_SA_PS9_NS6_6detail15normal_iteratorINS6_10device_ptrIS9_EEEENS0_8identityIS9_EEEE10hipError_tT2_T3_mT4_P12ihipStream_tbEUlT_E_NS1_11comp_targetILNS1_3genE5ELNS1_11target_archE942ELNS1_3gpuE9ELNS1_3repE0EEENS1_30default_config_static_selectorELNS0_4arch9wavefront6targetE1EEEvT1_
		.amdhsa_group_segment_fixed_size 0
		.amdhsa_private_segment_fixed_size 0
		.amdhsa_kernarg_size 296
		.amdhsa_user_sgpr_count 2
		.amdhsa_user_sgpr_dispatch_ptr 0
		.amdhsa_user_sgpr_queue_ptr 0
		.amdhsa_user_sgpr_kernarg_segment_ptr 1
		.amdhsa_user_sgpr_dispatch_id 0
		.amdhsa_user_sgpr_kernarg_preload_length 0
		.amdhsa_user_sgpr_kernarg_preload_offset 0
		.amdhsa_user_sgpr_private_segment_size 0
		.amdhsa_uses_dynamic_stack 0
		.amdhsa_enable_private_segment 0
		.amdhsa_system_sgpr_workgroup_id_x 1
		.amdhsa_system_sgpr_workgroup_id_y 0
		.amdhsa_system_sgpr_workgroup_id_z 0
		.amdhsa_system_sgpr_workgroup_info 0
		.amdhsa_system_vgpr_workitem_id 0
		.amdhsa_next_free_vgpr 12
		.amdhsa_next_free_sgpr 12
		.amdhsa_accum_offset 12
		.amdhsa_reserve_vcc 1
		.amdhsa_float_round_mode_32 0
		.amdhsa_float_round_mode_16_64 0
		.amdhsa_float_denorm_mode_32 3
		.amdhsa_float_denorm_mode_16_64 3
		.amdhsa_dx10_clamp 1
		.amdhsa_ieee_mode 1
		.amdhsa_fp16_overflow 0
		.amdhsa_tg_split 0
		.amdhsa_exception_fp_ieee_invalid_op 0
		.amdhsa_exception_fp_denorm_src 0
		.amdhsa_exception_fp_ieee_div_zero 0
		.amdhsa_exception_fp_ieee_overflow 0
		.amdhsa_exception_fp_ieee_underflow 0
		.amdhsa_exception_fp_ieee_inexact 0
		.amdhsa_exception_int_div_zero 0
	.end_amdhsa_kernel
	.section	.text._ZN7rocprim17ROCPRIM_400000_NS6detail17trampoline_kernelINS0_14default_configENS1_25transform_config_selectorIN6thrust23THRUST_200600_302600_NS5tupleIffNS6_9null_typeES8_S8_S8_S8_S8_S8_S8_EELb0EEEZNS1_14transform_implILb0ES3_SA_PS9_NS6_6detail15normal_iteratorINS6_10device_ptrIS9_EEEENS0_8identityIS9_EEEE10hipError_tT2_T3_mT4_P12ihipStream_tbEUlT_E_NS1_11comp_targetILNS1_3genE5ELNS1_11target_archE942ELNS1_3gpuE9ELNS1_3repE0EEENS1_30default_config_static_selectorELNS0_4arch9wavefront6targetE1EEEvT1_,"axG",@progbits,_ZN7rocprim17ROCPRIM_400000_NS6detail17trampoline_kernelINS0_14default_configENS1_25transform_config_selectorIN6thrust23THRUST_200600_302600_NS5tupleIffNS6_9null_typeES8_S8_S8_S8_S8_S8_S8_EELb0EEEZNS1_14transform_implILb0ES3_SA_PS9_NS6_6detail15normal_iteratorINS6_10device_ptrIS9_EEEENS0_8identityIS9_EEEE10hipError_tT2_T3_mT4_P12ihipStream_tbEUlT_E_NS1_11comp_targetILNS1_3genE5ELNS1_11target_archE942ELNS1_3gpuE9ELNS1_3repE0EEENS1_30default_config_static_selectorELNS0_4arch9wavefront6targetE1EEEvT1_,comdat
.Lfunc_end76:
	.size	_ZN7rocprim17ROCPRIM_400000_NS6detail17trampoline_kernelINS0_14default_configENS1_25transform_config_selectorIN6thrust23THRUST_200600_302600_NS5tupleIffNS6_9null_typeES8_S8_S8_S8_S8_S8_S8_EELb0EEEZNS1_14transform_implILb0ES3_SA_PS9_NS6_6detail15normal_iteratorINS6_10device_ptrIS9_EEEENS0_8identityIS9_EEEE10hipError_tT2_T3_mT4_P12ihipStream_tbEUlT_E_NS1_11comp_targetILNS1_3genE5ELNS1_11target_archE942ELNS1_3gpuE9ELNS1_3repE0EEENS1_30default_config_static_selectorELNS0_4arch9wavefront6targetE1EEEvT1_, .Lfunc_end76-_ZN7rocprim17ROCPRIM_400000_NS6detail17trampoline_kernelINS0_14default_configENS1_25transform_config_selectorIN6thrust23THRUST_200600_302600_NS5tupleIffNS6_9null_typeES8_S8_S8_S8_S8_S8_S8_EELb0EEEZNS1_14transform_implILb0ES3_SA_PS9_NS6_6detail15normal_iteratorINS6_10device_ptrIS9_EEEENS0_8identityIS9_EEEE10hipError_tT2_T3_mT4_P12ihipStream_tbEUlT_E_NS1_11comp_targetILNS1_3genE5ELNS1_11target_archE942ELNS1_3gpuE9ELNS1_3repE0EEENS1_30default_config_static_selectorELNS0_4arch9wavefront6targetE1EEEvT1_
                                        ; -- End function
	.section	.AMDGPU.csdata,"",@progbits
; Kernel info:
; codeLenInByte = 360
; NumSgprs: 18
; NumVgprs: 12
; NumAgprs: 0
; TotalNumVgprs: 12
; ScratchSize: 0
; MemoryBound: 0
; FloatMode: 240
; IeeeMode: 1
; LDSByteSize: 0 bytes/workgroup (compile time only)
; SGPRBlocks: 2
; VGPRBlocks: 1
; NumSGPRsForWavesPerEU: 18
; NumVGPRsForWavesPerEU: 12
; AccumOffset: 12
; Occupancy: 8
; WaveLimiterHint : 1
; COMPUTE_PGM_RSRC2:SCRATCH_EN: 0
; COMPUTE_PGM_RSRC2:USER_SGPR: 2
; COMPUTE_PGM_RSRC2:TRAP_HANDLER: 0
; COMPUTE_PGM_RSRC2:TGID_X_EN: 1
; COMPUTE_PGM_RSRC2:TGID_Y_EN: 0
; COMPUTE_PGM_RSRC2:TGID_Z_EN: 0
; COMPUTE_PGM_RSRC2:TIDIG_COMP_CNT: 0
; COMPUTE_PGM_RSRC3_GFX90A:ACCUM_OFFSET: 2
; COMPUTE_PGM_RSRC3_GFX90A:TG_SPLIT: 0
	.section	.text._ZN7rocprim17ROCPRIM_400000_NS6detail17trampoline_kernelINS0_14default_configENS1_25transform_config_selectorIN6thrust23THRUST_200600_302600_NS5tupleIffNS6_9null_typeES8_S8_S8_S8_S8_S8_S8_EELb0EEEZNS1_14transform_implILb0ES3_SA_PS9_NS6_6detail15normal_iteratorINS6_10device_ptrIS9_EEEENS0_8identityIS9_EEEE10hipError_tT2_T3_mT4_P12ihipStream_tbEUlT_E_NS1_11comp_targetILNS1_3genE4ELNS1_11target_archE910ELNS1_3gpuE8ELNS1_3repE0EEENS1_30default_config_static_selectorELNS0_4arch9wavefront6targetE1EEEvT1_,"axG",@progbits,_ZN7rocprim17ROCPRIM_400000_NS6detail17trampoline_kernelINS0_14default_configENS1_25transform_config_selectorIN6thrust23THRUST_200600_302600_NS5tupleIffNS6_9null_typeES8_S8_S8_S8_S8_S8_S8_EELb0EEEZNS1_14transform_implILb0ES3_SA_PS9_NS6_6detail15normal_iteratorINS6_10device_ptrIS9_EEEENS0_8identityIS9_EEEE10hipError_tT2_T3_mT4_P12ihipStream_tbEUlT_E_NS1_11comp_targetILNS1_3genE4ELNS1_11target_archE910ELNS1_3gpuE8ELNS1_3repE0EEENS1_30default_config_static_selectorELNS0_4arch9wavefront6targetE1EEEvT1_,comdat
	.protected	_ZN7rocprim17ROCPRIM_400000_NS6detail17trampoline_kernelINS0_14default_configENS1_25transform_config_selectorIN6thrust23THRUST_200600_302600_NS5tupleIffNS6_9null_typeES8_S8_S8_S8_S8_S8_S8_EELb0EEEZNS1_14transform_implILb0ES3_SA_PS9_NS6_6detail15normal_iteratorINS6_10device_ptrIS9_EEEENS0_8identityIS9_EEEE10hipError_tT2_T3_mT4_P12ihipStream_tbEUlT_E_NS1_11comp_targetILNS1_3genE4ELNS1_11target_archE910ELNS1_3gpuE8ELNS1_3repE0EEENS1_30default_config_static_selectorELNS0_4arch9wavefront6targetE1EEEvT1_ ; -- Begin function _ZN7rocprim17ROCPRIM_400000_NS6detail17trampoline_kernelINS0_14default_configENS1_25transform_config_selectorIN6thrust23THRUST_200600_302600_NS5tupleIffNS6_9null_typeES8_S8_S8_S8_S8_S8_S8_EELb0EEEZNS1_14transform_implILb0ES3_SA_PS9_NS6_6detail15normal_iteratorINS6_10device_ptrIS9_EEEENS0_8identityIS9_EEEE10hipError_tT2_T3_mT4_P12ihipStream_tbEUlT_E_NS1_11comp_targetILNS1_3genE4ELNS1_11target_archE910ELNS1_3gpuE8ELNS1_3repE0EEENS1_30default_config_static_selectorELNS0_4arch9wavefront6targetE1EEEvT1_
	.globl	_ZN7rocprim17ROCPRIM_400000_NS6detail17trampoline_kernelINS0_14default_configENS1_25transform_config_selectorIN6thrust23THRUST_200600_302600_NS5tupleIffNS6_9null_typeES8_S8_S8_S8_S8_S8_S8_EELb0EEEZNS1_14transform_implILb0ES3_SA_PS9_NS6_6detail15normal_iteratorINS6_10device_ptrIS9_EEEENS0_8identityIS9_EEEE10hipError_tT2_T3_mT4_P12ihipStream_tbEUlT_E_NS1_11comp_targetILNS1_3genE4ELNS1_11target_archE910ELNS1_3gpuE8ELNS1_3repE0EEENS1_30default_config_static_selectorELNS0_4arch9wavefront6targetE1EEEvT1_
	.p2align	8
	.type	_ZN7rocprim17ROCPRIM_400000_NS6detail17trampoline_kernelINS0_14default_configENS1_25transform_config_selectorIN6thrust23THRUST_200600_302600_NS5tupleIffNS6_9null_typeES8_S8_S8_S8_S8_S8_S8_EELb0EEEZNS1_14transform_implILb0ES3_SA_PS9_NS6_6detail15normal_iteratorINS6_10device_ptrIS9_EEEENS0_8identityIS9_EEEE10hipError_tT2_T3_mT4_P12ihipStream_tbEUlT_E_NS1_11comp_targetILNS1_3genE4ELNS1_11target_archE910ELNS1_3gpuE8ELNS1_3repE0EEENS1_30default_config_static_selectorELNS0_4arch9wavefront6targetE1EEEvT1_,@function
_ZN7rocprim17ROCPRIM_400000_NS6detail17trampoline_kernelINS0_14default_configENS1_25transform_config_selectorIN6thrust23THRUST_200600_302600_NS5tupleIffNS6_9null_typeES8_S8_S8_S8_S8_S8_S8_EELb0EEEZNS1_14transform_implILb0ES3_SA_PS9_NS6_6detail15normal_iteratorINS6_10device_ptrIS9_EEEENS0_8identityIS9_EEEE10hipError_tT2_T3_mT4_P12ihipStream_tbEUlT_E_NS1_11comp_targetILNS1_3genE4ELNS1_11target_archE910ELNS1_3gpuE8ELNS1_3repE0EEENS1_30default_config_static_selectorELNS0_4arch9wavefront6targetE1EEEvT1_: ; @_ZN7rocprim17ROCPRIM_400000_NS6detail17trampoline_kernelINS0_14default_configENS1_25transform_config_selectorIN6thrust23THRUST_200600_302600_NS5tupleIffNS6_9null_typeES8_S8_S8_S8_S8_S8_S8_EELb0EEEZNS1_14transform_implILb0ES3_SA_PS9_NS6_6detail15normal_iteratorINS6_10device_ptrIS9_EEEENS0_8identityIS9_EEEE10hipError_tT2_T3_mT4_P12ihipStream_tbEUlT_E_NS1_11comp_targetILNS1_3genE4ELNS1_11target_archE910ELNS1_3gpuE8ELNS1_3repE0EEENS1_30default_config_static_selectorELNS0_4arch9wavefront6targetE1EEEvT1_
; %bb.0:
	.section	.rodata,"a",@progbits
	.p2align	6, 0x0
	.amdhsa_kernel _ZN7rocprim17ROCPRIM_400000_NS6detail17trampoline_kernelINS0_14default_configENS1_25transform_config_selectorIN6thrust23THRUST_200600_302600_NS5tupleIffNS6_9null_typeES8_S8_S8_S8_S8_S8_S8_EELb0EEEZNS1_14transform_implILb0ES3_SA_PS9_NS6_6detail15normal_iteratorINS6_10device_ptrIS9_EEEENS0_8identityIS9_EEEE10hipError_tT2_T3_mT4_P12ihipStream_tbEUlT_E_NS1_11comp_targetILNS1_3genE4ELNS1_11target_archE910ELNS1_3gpuE8ELNS1_3repE0EEENS1_30default_config_static_selectorELNS0_4arch9wavefront6targetE1EEEvT1_
		.amdhsa_group_segment_fixed_size 0
		.amdhsa_private_segment_fixed_size 0
		.amdhsa_kernarg_size 40
		.amdhsa_user_sgpr_count 2
		.amdhsa_user_sgpr_dispatch_ptr 0
		.amdhsa_user_sgpr_queue_ptr 0
		.amdhsa_user_sgpr_kernarg_segment_ptr 1
		.amdhsa_user_sgpr_dispatch_id 0
		.amdhsa_user_sgpr_kernarg_preload_length 0
		.amdhsa_user_sgpr_kernarg_preload_offset 0
		.amdhsa_user_sgpr_private_segment_size 0
		.amdhsa_uses_dynamic_stack 0
		.amdhsa_enable_private_segment 0
		.amdhsa_system_sgpr_workgroup_id_x 1
		.amdhsa_system_sgpr_workgroup_id_y 0
		.amdhsa_system_sgpr_workgroup_id_z 0
		.amdhsa_system_sgpr_workgroup_info 0
		.amdhsa_system_vgpr_workitem_id 0
		.amdhsa_next_free_vgpr 1
		.amdhsa_next_free_sgpr 0
		.amdhsa_accum_offset 4
		.amdhsa_reserve_vcc 0
		.amdhsa_float_round_mode_32 0
		.amdhsa_float_round_mode_16_64 0
		.amdhsa_float_denorm_mode_32 3
		.amdhsa_float_denorm_mode_16_64 3
		.amdhsa_dx10_clamp 1
		.amdhsa_ieee_mode 1
		.amdhsa_fp16_overflow 0
		.amdhsa_tg_split 0
		.amdhsa_exception_fp_ieee_invalid_op 0
		.amdhsa_exception_fp_denorm_src 0
		.amdhsa_exception_fp_ieee_div_zero 0
		.amdhsa_exception_fp_ieee_overflow 0
		.amdhsa_exception_fp_ieee_underflow 0
		.amdhsa_exception_fp_ieee_inexact 0
		.amdhsa_exception_int_div_zero 0
	.end_amdhsa_kernel
	.section	.text._ZN7rocprim17ROCPRIM_400000_NS6detail17trampoline_kernelINS0_14default_configENS1_25transform_config_selectorIN6thrust23THRUST_200600_302600_NS5tupleIffNS6_9null_typeES8_S8_S8_S8_S8_S8_S8_EELb0EEEZNS1_14transform_implILb0ES3_SA_PS9_NS6_6detail15normal_iteratorINS6_10device_ptrIS9_EEEENS0_8identityIS9_EEEE10hipError_tT2_T3_mT4_P12ihipStream_tbEUlT_E_NS1_11comp_targetILNS1_3genE4ELNS1_11target_archE910ELNS1_3gpuE8ELNS1_3repE0EEENS1_30default_config_static_selectorELNS0_4arch9wavefront6targetE1EEEvT1_,"axG",@progbits,_ZN7rocprim17ROCPRIM_400000_NS6detail17trampoline_kernelINS0_14default_configENS1_25transform_config_selectorIN6thrust23THRUST_200600_302600_NS5tupleIffNS6_9null_typeES8_S8_S8_S8_S8_S8_S8_EELb0EEEZNS1_14transform_implILb0ES3_SA_PS9_NS6_6detail15normal_iteratorINS6_10device_ptrIS9_EEEENS0_8identityIS9_EEEE10hipError_tT2_T3_mT4_P12ihipStream_tbEUlT_E_NS1_11comp_targetILNS1_3genE4ELNS1_11target_archE910ELNS1_3gpuE8ELNS1_3repE0EEENS1_30default_config_static_selectorELNS0_4arch9wavefront6targetE1EEEvT1_,comdat
.Lfunc_end77:
	.size	_ZN7rocprim17ROCPRIM_400000_NS6detail17trampoline_kernelINS0_14default_configENS1_25transform_config_selectorIN6thrust23THRUST_200600_302600_NS5tupleIffNS6_9null_typeES8_S8_S8_S8_S8_S8_S8_EELb0EEEZNS1_14transform_implILb0ES3_SA_PS9_NS6_6detail15normal_iteratorINS6_10device_ptrIS9_EEEENS0_8identityIS9_EEEE10hipError_tT2_T3_mT4_P12ihipStream_tbEUlT_E_NS1_11comp_targetILNS1_3genE4ELNS1_11target_archE910ELNS1_3gpuE8ELNS1_3repE0EEENS1_30default_config_static_selectorELNS0_4arch9wavefront6targetE1EEEvT1_, .Lfunc_end77-_ZN7rocprim17ROCPRIM_400000_NS6detail17trampoline_kernelINS0_14default_configENS1_25transform_config_selectorIN6thrust23THRUST_200600_302600_NS5tupleIffNS6_9null_typeES8_S8_S8_S8_S8_S8_S8_EELb0EEEZNS1_14transform_implILb0ES3_SA_PS9_NS6_6detail15normal_iteratorINS6_10device_ptrIS9_EEEENS0_8identityIS9_EEEE10hipError_tT2_T3_mT4_P12ihipStream_tbEUlT_E_NS1_11comp_targetILNS1_3genE4ELNS1_11target_archE910ELNS1_3gpuE8ELNS1_3repE0EEENS1_30default_config_static_selectorELNS0_4arch9wavefront6targetE1EEEvT1_
                                        ; -- End function
	.section	.AMDGPU.csdata,"",@progbits
; Kernel info:
; codeLenInByte = 0
; NumSgprs: 6
; NumVgprs: 0
; NumAgprs: 0
; TotalNumVgprs: 0
; ScratchSize: 0
; MemoryBound: 0
; FloatMode: 240
; IeeeMode: 1
; LDSByteSize: 0 bytes/workgroup (compile time only)
; SGPRBlocks: 0
; VGPRBlocks: 0
; NumSGPRsForWavesPerEU: 6
; NumVGPRsForWavesPerEU: 1
; AccumOffset: 4
; Occupancy: 8
; WaveLimiterHint : 0
; COMPUTE_PGM_RSRC2:SCRATCH_EN: 0
; COMPUTE_PGM_RSRC2:USER_SGPR: 2
; COMPUTE_PGM_RSRC2:TRAP_HANDLER: 0
; COMPUTE_PGM_RSRC2:TGID_X_EN: 1
; COMPUTE_PGM_RSRC2:TGID_Y_EN: 0
; COMPUTE_PGM_RSRC2:TGID_Z_EN: 0
; COMPUTE_PGM_RSRC2:TIDIG_COMP_CNT: 0
; COMPUTE_PGM_RSRC3_GFX90A:ACCUM_OFFSET: 0
; COMPUTE_PGM_RSRC3_GFX90A:TG_SPLIT: 0
	.section	.text._ZN7rocprim17ROCPRIM_400000_NS6detail17trampoline_kernelINS0_14default_configENS1_25transform_config_selectorIN6thrust23THRUST_200600_302600_NS5tupleIffNS6_9null_typeES8_S8_S8_S8_S8_S8_S8_EELb0EEEZNS1_14transform_implILb0ES3_SA_PS9_NS6_6detail15normal_iteratorINS6_10device_ptrIS9_EEEENS0_8identityIS9_EEEE10hipError_tT2_T3_mT4_P12ihipStream_tbEUlT_E_NS1_11comp_targetILNS1_3genE3ELNS1_11target_archE908ELNS1_3gpuE7ELNS1_3repE0EEENS1_30default_config_static_selectorELNS0_4arch9wavefront6targetE1EEEvT1_,"axG",@progbits,_ZN7rocprim17ROCPRIM_400000_NS6detail17trampoline_kernelINS0_14default_configENS1_25transform_config_selectorIN6thrust23THRUST_200600_302600_NS5tupleIffNS6_9null_typeES8_S8_S8_S8_S8_S8_S8_EELb0EEEZNS1_14transform_implILb0ES3_SA_PS9_NS6_6detail15normal_iteratorINS6_10device_ptrIS9_EEEENS0_8identityIS9_EEEE10hipError_tT2_T3_mT4_P12ihipStream_tbEUlT_E_NS1_11comp_targetILNS1_3genE3ELNS1_11target_archE908ELNS1_3gpuE7ELNS1_3repE0EEENS1_30default_config_static_selectorELNS0_4arch9wavefront6targetE1EEEvT1_,comdat
	.protected	_ZN7rocprim17ROCPRIM_400000_NS6detail17trampoline_kernelINS0_14default_configENS1_25transform_config_selectorIN6thrust23THRUST_200600_302600_NS5tupleIffNS6_9null_typeES8_S8_S8_S8_S8_S8_S8_EELb0EEEZNS1_14transform_implILb0ES3_SA_PS9_NS6_6detail15normal_iteratorINS6_10device_ptrIS9_EEEENS0_8identityIS9_EEEE10hipError_tT2_T3_mT4_P12ihipStream_tbEUlT_E_NS1_11comp_targetILNS1_3genE3ELNS1_11target_archE908ELNS1_3gpuE7ELNS1_3repE0EEENS1_30default_config_static_selectorELNS0_4arch9wavefront6targetE1EEEvT1_ ; -- Begin function _ZN7rocprim17ROCPRIM_400000_NS6detail17trampoline_kernelINS0_14default_configENS1_25transform_config_selectorIN6thrust23THRUST_200600_302600_NS5tupleIffNS6_9null_typeES8_S8_S8_S8_S8_S8_S8_EELb0EEEZNS1_14transform_implILb0ES3_SA_PS9_NS6_6detail15normal_iteratorINS6_10device_ptrIS9_EEEENS0_8identityIS9_EEEE10hipError_tT2_T3_mT4_P12ihipStream_tbEUlT_E_NS1_11comp_targetILNS1_3genE3ELNS1_11target_archE908ELNS1_3gpuE7ELNS1_3repE0EEENS1_30default_config_static_selectorELNS0_4arch9wavefront6targetE1EEEvT1_
	.globl	_ZN7rocprim17ROCPRIM_400000_NS6detail17trampoline_kernelINS0_14default_configENS1_25transform_config_selectorIN6thrust23THRUST_200600_302600_NS5tupleIffNS6_9null_typeES8_S8_S8_S8_S8_S8_S8_EELb0EEEZNS1_14transform_implILb0ES3_SA_PS9_NS6_6detail15normal_iteratorINS6_10device_ptrIS9_EEEENS0_8identityIS9_EEEE10hipError_tT2_T3_mT4_P12ihipStream_tbEUlT_E_NS1_11comp_targetILNS1_3genE3ELNS1_11target_archE908ELNS1_3gpuE7ELNS1_3repE0EEENS1_30default_config_static_selectorELNS0_4arch9wavefront6targetE1EEEvT1_
	.p2align	8
	.type	_ZN7rocprim17ROCPRIM_400000_NS6detail17trampoline_kernelINS0_14default_configENS1_25transform_config_selectorIN6thrust23THRUST_200600_302600_NS5tupleIffNS6_9null_typeES8_S8_S8_S8_S8_S8_S8_EELb0EEEZNS1_14transform_implILb0ES3_SA_PS9_NS6_6detail15normal_iteratorINS6_10device_ptrIS9_EEEENS0_8identityIS9_EEEE10hipError_tT2_T3_mT4_P12ihipStream_tbEUlT_E_NS1_11comp_targetILNS1_3genE3ELNS1_11target_archE908ELNS1_3gpuE7ELNS1_3repE0EEENS1_30default_config_static_selectorELNS0_4arch9wavefront6targetE1EEEvT1_,@function
_ZN7rocprim17ROCPRIM_400000_NS6detail17trampoline_kernelINS0_14default_configENS1_25transform_config_selectorIN6thrust23THRUST_200600_302600_NS5tupleIffNS6_9null_typeES8_S8_S8_S8_S8_S8_S8_EELb0EEEZNS1_14transform_implILb0ES3_SA_PS9_NS6_6detail15normal_iteratorINS6_10device_ptrIS9_EEEENS0_8identityIS9_EEEE10hipError_tT2_T3_mT4_P12ihipStream_tbEUlT_E_NS1_11comp_targetILNS1_3genE3ELNS1_11target_archE908ELNS1_3gpuE7ELNS1_3repE0EEENS1_30default_config_static_selectorELNS0_4arch9wavefront6targetE1EEEvT1_: ; @_ZN7rocprim17ROCPRIM_400000_NS6detail17trampoline_kernelINS0_14default_configENS1_25transform_config_selectorIN6thrust23THRUST_200600_302600_NS5tupleIffNS6_9null_typeES8_S8_S8_S8_S8_S8_S8_EELb0EEEZNS1_14transform_implILb0ES3_SA_PS9_NS6_6detail15normal_iteratorINS6_10device_ptrIS9_EEEENS0_8identityIS9_EEEE10hipError_tT2_T3_mT4_P12ihipStream_tbEUlT_E_NS1_11comp_targetILNS1_3genE3ELNS1_11target_archE908ELNS1_3gpuE7ELNS1_3repE0EEENS1_30default_config_static_selectorELNS0_4arch9wavefront6targetE1EEEvT1_
; %bb.0:
	.section	.rodata,"a",@progbits
	.p2align	6, 0x0
	.amdhsa_kernel _ZN7rocprim17ROCPRIM_400000_NS6detail17trampoline_kernelINS0_14default_configENS1_25transform_config_selectorIN6thrust23THRUST_200600_302600_NS5tupleIffNS6_9null_typeES8_S8_S8_S8_S8_S8_S8_EELb0EEEZNS1_14transform_implILb0ES3_SA_PS9_NS6_6detail15normal_iteratorINS6_10device_ptrIS9_EEEENS0_8identityIS9_EEEE10hipError_tT2_T3_mT4_P12ihipStream_tbEUlT_E_NS1_11comp_targetILNS1_3genE3ELNS1_11target_archE908ELNS1_3gpuE7ELNS1_3repE0EEENS1_30default_config_static_selectorELNS0_4arch9wavefront6targetE1EEEvT1_
		.amdhsa_group_segment_fixed_size 0
		.amdhsa_private_segment_fixed_size 0
		.amdhsa_kernarg_size 40
		.amdhsa_user_sgpr_count 2
		.amdhsa_user_sgpr_dispatch_ptr 0
		.amdhsa_user_sgpr_queue_ptr 0
		.amdhsa_user_sgpr_kernarg_segment_ptr 1
		.amdhsa_user_sgpr_dispatch_id 0
		.amdhsa_user_sgpr_kernarg_preload_length 0
		.amdhsa_user_sgpr_kernarg_preload_offset 0
		.amdhsa_user_sgpr_private_segment_size 0
		.amdhsa_uses_dynamic_stack 0
		.amdhsa_enable_private_segment 0
		.amdhsa_system_sgpr_workgroup_id_x 1
		.amdhsa_system_sgpr_workgroup_id_y 0
		.amdhsa_system_sgpr_workgroup_id_z 0
		.amdhsa_system_sgpr_workgroup_info 0
		.amdhsa_system_vgpr_workitem_id 0
		.amdhsa_next_free_vgpr 1
		.amdhsa_next_free_sgpr 0
		.amdhsa_accum_offset 4
		.amdhsa_reserve_vcc 0
		.amdhsa_float_round_mode_32 0
		.amdhsa_float_round_mode_16_64 0
		.amdhsa_float_denorm_mode_32 3
		.amdhsa_float_denorm_mode_16_64 3
		.amdhsa_dx10_clamp 1
		.amdhsa_ieee_mode 1
		.amdhsa_fp16_overflow 0
		.amdhsa_tg_split 0
		.amdhsa_exception_fp_ieee_invalid_op 0
		.amdhsa_exception_fp_denorm_src 0
		.amdhsa_exception_fp_ieee_div_zero 0
		.amdhsa_exception_fp_ieee_overflow 0
		.amdhsa_exception_fp_ieee_underflow 0
		.amdhsa_exception_fp_ieee_inexact 0
		.amdhsa_exception_int_div_zero 0
	.end_amdhsa_kernel
	.section	.text._ZN7rocprim17ROCPRIM_400000_NS6detail17trampoline_kernelINS0_14default_configENS1_25transform_config_selectorIN6thrust23THRUST_200600_302600_NS5tupleIffNS6_9null_typeES8_S8_S8_S8_S8_S8_S8_EELb0EEEZNS1_14transform_implILb0ES3_SA_PS9_NS6_6detail15normal_iteratorINS6_10device_ptrIS9_EEEENS0_8identityIS9_EEEE10hipError_tT2_T3_mT4_P12ihipStream_tbEUlT_E_NS1_11comp_targetILNS1_3genE3ELNS1_11target_archE908ELNS1_3gpuE7ELNS1_3repE0EEENS1_30default_config_static_selectorELNS0_4arch9wavefront6targetE1EEEvT1_,"axG",@progbits,_ZN7rocprim17ROCPRIM_400000_NS6detail17trampoline_kernelINS0_14default_configENS1_25transform_config_selectorIN6thrust23THRUST_200600_302600_NS5tupleIffNS6_9null_typeES8_S8_S8_S8_S8_S8_S8_EELb0EEEZNS1_14transform_implILb0ES3_SA_PS9_NS6_6detail15normal_iteratorINS6_10device_ptrIS9_EEEENS0_8identityIS9_EEEE10hipError_tT2_T3_mT4_P12ihipStream_tbEUlT_E_NS1_11comp_targetILNS1_3genE3ELNS1_11target_archE908ELNS1_3gpuE7ELNS1_3repE0EEENS1_30default_config_static_selectorELNS0_4arch9wavefront6targetE1EEEvT1_,comdat
.Lfunc_end78:
	.size	_ZN7rocprim17ROCPRIM_400000_NS6detail17trampoline_kernelINS0_14default_configENS1_25transform_config_selectorIN6thrust23THRUST_200600_302600_NS5tupleIffNS6_9null_typeES8_S8_S8_S8_S8_S8_S8_EELb0EEEZNS1_14transform_implILb0ES3_SA_PS9_NS6_6detail15normal_iteratorINS6_10device_ptrIS9_EEEENS0_8identityIS9_EEEE10hipError_tT2_T3_mT4_P12ihipStream_tbEUlT_E_NS1_11comp_targetILNS1_3genE3ELNS1_11target_archE908ELNS1_3gpuE7ELNS1_3repE0EEENS1_30default_config_static_selectorELNS0_4arch9wavefront6targetE1EEEvT1_, .Lfunc_end78-_ZN7rocprim17ROCPRIM_400000_NS6detail17trampoline_kernelINS0_14default_configENS1_25transform_config_selectorIN6thrust23THRUST_200600_302600_NS5tupleIffNS6_9null_typeES8_S8_S8_S8_S8_S8_S8_EELb0EEEZNS1_14transform_implILb0ES3_SA_PS9_NS6_6detail15normal_iteratorINS6_10device_ptrIS9_EEEENS0_8identityIS9_EEEE10hipError_tT2_T3_mT4_P12ihipStream_tbEUlT_E_NS1_11comp_targetILNS1_3genE3ELNS1_11target_archE908ELNS1_3gpuE7ELNS1_3repE0EEENS1_30default_config_static_selectorELNS0_4arch9wavefront6targetE1EEEvT1_
                                        ; -- End function
	.section	.AMDGPU.csdata,"",@progbits
; Kernel info:
; codeLenInByte = 0
; NumSgprs: 6
; NumVgprs: 0
; NumAgprs: 0
; TotalNumVgprs: 0
; ScratchSize: 0
; MemoryBound: 0
; FloatMode: 240
; IeeeMode: 1
; LDSByteSize: 0 bytes/workgroup (compile time only)
; SGPRBlocks: 0
; VGPRBlocks: 0
; NumSGPRsForWavesPerEU: 6
; NumVGPRsForWavesPerEU: 1
; AccumOffset: 4
; Occupancy: 8
; WaveLimiterHint : 0
; COMPUTE_PGM_RSRC2:SCRATCH_EN: 0
; COMPUTE_PGM_RSRC2:USER_SGPR: 2
; COMPUTE_PGM_RSRC2:TRAP_HANDLER: 0
; COMPUTE_PGM_RSRC2:TGID_X_EN: 1
; COMPUTE_PGM_RSRC2:TGID_Y_EN: 0
; COMPUTE_PGM_RSRC2:TGID_Z_EN: 0
; COMPUTE_PGM_RSRC2:TIDIG_COMP_CNT: 0
; COMPUTE_PGM_RSRC3_GFX90A:ACCUM_OFFSET: 0
; COMPUTE_PGM_RSRC3_GFX90A:TG_SPLIT: 0
	.section	.text._ZN7rocprim17ROCPRIM_400000_NS6detail17trampoline_kernelINS0_14default_configENS1_25transform_config_selectorIN6thrust23THRUST_200600_302600_NS5tupleIffNS6_9null_typeES8_S8_S8_S8_S8_S8_S8_EELb0EEEZNS1_14transform_implILb0ES3_SA_PS9_NS6_6detail15normal_iteratorINS6_10device_ptrIS9_EEEENS0_8identityIS9_EEEE10hipError_tT2_T3_mT4_P12ihipStream_tbEUlT_E_NS1_11comp_targetILNS1_3genE2ELNS1_11target_archE906ELNS1_3gpuE6ELNS1_3repE0EEENS1_30default_config_static_selectorELNS0_4arch9wavefront6targetE1EEEvT1_,"axG",@progbits,_ZN7rocprim17ROCPRIM_400000_NS6detail17trampoline_kernelINS0_14default_configENS1_25transform_config_selectorIN6thrust23THRUST_200600_302600_NS5tupleIffNS6_9null_typeES8_S8_S8_S8_S8_S8_S8_EELb0EEEZNS1_14transform_implILb0ES3_SA_PS9_NS6_6detail15normal_iteratorINS6_10device_ptrIS9_EEEENS0_8identityIS9_EEEE10hipError_tT2_T3_mT4_P12ihipStream_tbEUlT_E_NS1_11comp_targetILNS1_3genE2ELNS1_11target_archE906ELNS1_3gpuE6ELNS1_3repE0EEENS1_30default_config_static_selectorELNS0_4arch9wavefront6targetE1EEEvT1_,comdat
	.protected	_ZN7rocprim17ROCPRIM_400000_NS6detail17trampoline_kernelINS0_14default_configENS1_25transform_config_selectorIN6thrust23THRUST_200600_302600_NS5tupleIffNS6_9null_typeES8_S8_S8_S8_S8_S8_S8_EELb0EEEZNS1_14transform_implILb0ES3_SA_PS9_NS6_6detail15normal_iteratorINS6_10device_ptrIS9_EEEENS0_8identityIS9_EEEE10hipError_tT2_T3_mT4_P12ihipStream_tbEUlT_E_NS1_11comp_targetILNS1_3genE2ELNS1_11target_archE906ELNS1_3gpuE6ELNS1_3repE0EEENS1_30default_config_static_selectorELNS0_4arch9wavefront6targetE1EEEvT1_ ; -- Begin function _ZN7rocprim17ROCPRIM_400000_NS6detail17trampoline_kernelINS0_14default_configENS1_25transform_config_selectorIN6thrust23THRUST_200600_302600_NS5tupleIffNS6_9null_typeES8_S8_S8_S8_S8_S8_S8_EELb0EEEZNS1_14transform_implILb0ES3_SA_PS9_NS6_6detail15normal_iteratorINS6_10device_ptrIS9_EEEENS0_8identityIS9_EEEE10hipError_tT2_T3_mT4_P12ihipStream_tbEUlT_E_NS1_11comp_targetILNS1_3genE2ELNS1_11target_archE906ELNS1_3gpuE6ELNS1_3repE0EEENS1_30default_config_static_selectorELNS0_4arch9wavefront6targetE1EEEvT1_
	.globl	_ZN7rocprim17ROCPRIM_400000_NS6detail17trampoline_kernelINS0_14default_configENS1_25transform_config_selectorIN6thrust23THRUST_200600_302600_NS5tupleIffNS6_9null_typeES8_S8_S8_S8_S8_S8_S8_EELb0EEEZNS1_14transform_implILb0ES3_SA_PS9_NS6_6detail15normal_iteratorINS6_10device_ptrIS9_EEEENS0_8identityIS9_EEEE10hipError_tT2_T3_mT4_P12ihipStream_tbEUlT_E_NS1_11comp_targetILNS1_3genE2ELNS1_11target_archE906ELNS1_3gpuE6ELNS1_3repE0EEENS1_30default_config_static_selectorELNS0_4arch9wavefront6targetE1EEEvT1_
	.p2align	8
	.type	_ZN7rocprim17ROCPRIM_400000_NS6detail17trampoline_kernelINS0_14default_configENS1_25transform_config_selectorIN6thrust23THRUST_200600_302600_NS5tupleIffNS6_9null_typeES8_S8_S8_S8_S8_S8_S8_EELb0EEEZNS1_14transform_implILb0ES3_SA_PS9_NS6_6detail15normal_iteratorINS6_10device_ptrIS9_EEEENS0_8identityIS9_EEEE10hipError_tT2_T3_mT4_P12ihipStream_tbEUlT_E_NS1_11comp_targetILNS1_3genE2ELNS1_11target_archE906ELNS1_3gpuE6ELNS1_3repE0EEENS1_30default_config_static_selectorELNS0_4arch9wavefront6targetE1EEEvT1_,@function
_ZN7rocprim17ROCPRIM_400000_NS6detail17trampoline_kernelINS0_14default_configENS1_25transform_config_selectorIN6thrust23THRUST_200600_302600_NS5tupleIffNS6_9null_typeES8_S8_S8_S8_S8_S8_S8_EELb0EEEZNS1_14transform_implILb0ES3_SA_PS9_NS6_6detail15normal_iteratorINS6_10device_ptrIS9_EEEENS0_8identityIS9_EEEE10hipError_tT2_T3_mT4_P12ihipStream_tbEUlT_E_NS1_11comp_targetILNS1_3genE2ELNS1_11target_archE906ELNS1_3gpuE6ELNS1_3repE0EEENS1_30default_config_static_selectorELNS0_4arch9wavefront6targetE1EEEvT1_: ; @_ZN7rocprim17ROCPRIM_400000_NS6detail17trampoline_kernelINS0_14default_configENS1_25transform_config_selectorIN6thrust23THRUST_200600_302600_NS5tupleIffNS6_9null_typeES8_S8_S8_S8_S8_S8_S8_EELb0EEEZNS1_14transform_implILb0ES3_SA_PS9_NS6_6detail15normal_iteratorINS6_10device_ptrIS9_EEEENS0_8identityIS9_EEEE10hipError_tT2_T3_mT4_P12ihipStream_tbEUlT_E_NS1_11comp_targetILNS1_3genE2ELNS1_11target_archE906ELNS1_3gpuE6ELNS1_3repE0EEENS1_30default_config_static_selectorELNS0_4arch9wavefront6targetE1EEEvT1_
; %bb.0:
	.section	.rodata,"a",@progbits
	.p2align	6, 0x0
	.amdhsa_kernel _ZN7rocprim17ROCPRIM_400000_NS6detail17trampoline_kernelINS0_14default_configENS1_25transform_config_selectorIN6thrust23THRUST_200600_302600_NS5tupleIffNS6_9null_typeES8_S8_S8_S8_S8_S8_S8_EELb0EEEZNS1_14transform_implILb0ES3_SA_PS9_NS6_6detail15normal_iteratorINS6_10device_ptrIS9_EEEENS0_8identityIS9_EEEE10hipError_tT2_T3_mT4_P12ihipStream_tbEUlT_E_NS1_11comp_targetILNS1_3genE2ELNS1_11target_archE906ELNS1_3gpuE6ELNS1_3repE0EEENS1_30default_config_static_selectorELNS0_4arch9wavefront6targetE1EEEvT1_
		.amdhsa_group_segment_fixed_size 0
		.amdhsa_private_segment_fixed_size 0
		.amdhsa_kernarg_size 40
		.amdhsa_user_sgpr_count 2
		.amdhsa_user_sgpr_dispatch_ptr 0
		.amdhsa_user_sgpr_queue_ptr 0
		.amdhsa_user_sgpr_kernarg_segment_ptr 1
		.amdhsa_user_sgpr_dispatch_id 0
		.amdhsa_user_sgpr_kernarg_preload_length 0
		.amdhsa_user_sgpr_kernarg_preload_offset 0
		.amdhsa_user_sgpr_private_segment_size 0
		.amdhsa_uses_dynamic_stack 0
		.amdhsa_enable_private_segment 0
		.amdhsa_system_sgpr_workgroup_id_x 1
		.amdhsa_system_sgpr_workgroup_id_y 0
		.amdhsa_system_sgpr_workgroup_id_z 0
		.amdhsa_system_sgpr_workgroup_info 0
		.amdhsa_system_vgpr_workitem_id 0
		.amdhsa_next_free_vgpr 1
		.amdhsa_next_free_sgpr 0
		.amdhsa_accum_offset 4
		.amdhsa_reserve_vcc 0
		.amdhsa_float_round_mode_32 0
		.amdhsa_float_round_mode_16_64 0
		.amdhsa_float_denorm_mode_32 3
		.amdhsa_float_denorm_mode_16_64 3
		.amdhsa_dx10_clamp 1
		.amdhsa_ieee_mode 1
		.amdhsa_fp16_overflow 0
		.amdhsa_tg_split 0
		.amdhsa_exception_fp_ieee_invalid_op 0
		.amdhsa_exception_fp_denorm_src 0
		.amdhsa_exception_fp_ieee_div_zero 0
		.amdhsa_exception_fp_ieee_overflow 0
		.amdhsa_exception_fp_ieee_underflow 0
		.amdhsa_exception_fp_ieee_inexact 0
		.amdhsa_exception_int_div_zero 0
	.end_amdhsa_kernel
	.section	.text._ZN7rocprim17ROCPRIM_400000_NS6detail17trampoline_kernelINS0_14default_configENS1_25transform_config_selectorIN6thrust23THRUST_200600_302600_NS5tupleIffNS6_9null_typeES8_S8_S8_S8_S8_S8_S8_EELb0EEEZNS1_14transform_implILb0ES3_SA_PS9_NS6_6detail15normal_iteratorINS6_10device_ptrIS9_EEEENS0_8identityIS9_EEEE10hipError_tT2_T3_mT4_P12ihipStream_tbEUlT_E_NS1_11comp_targetILNS1_3genE2ELNS1_11target_archE906ELNS1_3gpuE6ELNS1_3repE0EEENS1_30default_config_static_selectorELNS0_4arch9wavefront6targetE1EEEvT1_,"axG",@progbits,_ZN7rocprim17ROCPRIM_400000_NS6detail17trampoline_kernelINS0_14default_configENS1_25transform_config_selectorIN6thrust23THRUST_200600_302600_NS5tupleIffNS6_9null_typeES8_S8_S8_S8_S8_S8_S8_EELb0EEEZNS1_14transform_implILb0ES3_SA_PS9_NS6_6detail15normal_iteratorINS6_10device_ptrIS9_EEEENS0_8identityIS9_EEEE10hipError_tT2_T3_mT4_P12ihipStream_tbEUlT_E_NS1_11comp_targetILNS1_3genE2ELNS1_11target_archE906ELNS1_3gpuE6ELNS1_3repE0EEENS1_30default_config_static_selectorELNS0_4arch9wavefront6targetE1EEEvT1_,comdat
.Lfunc_end79:
	.size	_ZN7rocprim17ROCPRIM_400000_NS6detail17trampoline_kernelINS0_14default_configENS1_25transform_config_selectorIN6thrust23THRUST_200600_302600_NS5tupleIffNS6_9null_typeES8_S8_S8_S8_S8_S8_S8_EELb0EEEZNS1_14transform_implILb0ES3_SA_PS9_NS6_6detail15normal_iteratorINS6_10device_ptrIS9_EEEENS0_8identityIS9_EEEE10hipError_tT2_T3_mT4_P12ihipStream_tbEUlT_E_NS1_11comp_targetILNS1_3genE2ELNS1_11target_archE906ELNS1_3gpuE6ELNS1_3repE0EEENS1_30default_config_static_selectorELNS0_4arch9wavefront6targetE1EEEvT1_, .Lfunc_end79-_ZN7rocprim17ROCPRIM_400000_NS6detail17trampoline_kernelINS0_14default_configENS1_25transform_config_selectorIN6thrust23THRUST_200600_302600_NS5tupleIffNS6_9null_typeES8_S8_S8_S8_S8_S8_S8_EELb0EEEZNS1_14transform_implILb0ES3_SA_PS9_NS6_6detail15normal_iteratorINS6_10device_ptrIS9_EEEENS0_8identityIS9_EEEE10hipError_tT2_T3_mT4_P12ihipStream_tbEUlT_E_NS1_11comp_targetILNS1_3genE2ELNS1_11target_archE906ELNS1_3gpuE6ELNS1_3repE0EEENS1_30default_config_static_selectorELNS0_4arch9wavefront6targetE1EEEvT1_
                                        ; -- End function
	.section	.AMDGPU.csdata,"",@progbits
; Kernel info:
; codeLenInByte = 0
; NumSgprs: 6
; NumVgprs: 0
; NumAgprs: 0
; TotalNumVgprs: 0
; ScratchSize: 0
; MemoryBound: 0
; FloatMode: 240
; IeeeMode: 1
; LDSByteSize: 0 bytes/workgroup (compile time only)
; SGPRBlocks: 0
; VGPRBlocks: 0
; NumSGPRsForWavesPerEU: 6
; NumVGPRsForWavesPerEU: 1
; AccumOffset: 4
; Occupancy: 8
; WaveLimiterHint : 0
; COMPUTE_PGM_RSRC2:SCRATCH_EN: 0
; COMPUTE_PGM_RSRC2:USER_SGPR: 2
; COMPUTE_PGM_RSRC2:TRAP_HANDLER: 0
; COMPUTE_PGM_RSRC2:TGID_X_EN: 1
; COMPUTE_PGM_RSRC2:TGID_Y_EN: 0
; COMPUTE_PGM_RSRC2:TGID_Z_EN: 0
; COMPUTE_PGM_RSRC2:TIDIG_COMP_CNT: 0
; COMPUTE_PGM_RSRC3_GFX90A:ACCUM_OFFSET: 0
; COMPUTE_PGM_RSRC3_GFX90A:TG_SPLIT: 0
	.section	.text._ZN7rocprim17ROCPRIM_400000_NS6detail17trampoline_kernelINS0_14default_configENS1_25transform_config_selectorIN6thrust23THRUST_200600_302600_NS5tupleIffNS6_9null_typeES8_S8_S8_S8_S8_S8_S8_EELb0EEEZNS1_14transform_implILb0ES3_SA_PS9_NS6_6detail15normal_iteratorINS6_10device_ptrIS9_EEEENS0_8identityIS9_EEEE10hipError_tT2_T3_mT4_P12ihipStream_tbEUlT_E_NS1_11comp_targetILNS1_3genE10ELNS1_11target_archE1201ELNS1_3gpuE5ELNS1_3repE0EEENS1_30default_config_static_selectorELNS0_4arch9wavefront6targetE1EEEvT1_,"axG",@progbits,_ZN7rocprim17ROCPRIM_400000_NS6detail17trampoline_kernelINS0_14default_configENS1_25transform_config_selectorIN6thrust23THRUST_200600_302600_NS5tupleIffNS6_9null_typeES8_S8_S8_S8_S8_S8_S8_EELb0EEEZNS1_14transform_implILb0ES3_SA_PS9_NS6_6detail15normal_iteratorINS6_10device_ptrIS9_EEEENS0_8identityIS9_EEEE10hipError_tT2_T3_mT4_P12ihipStream_tbEUlT_E_NS1_11comp_targetILNS1_3genE10ELNS1_11target_archE1201ELNS1_3gpuE5ELNS1_3repE0EEENS1_30default_config_static_selectorELNS0_4arch9wavefront6targetE1EEEvT1_,comdat
	.protected	_ZN7rocprim17ROCPRIM_400000_NS6detail17trampoline_kernelINS0_14default_configENS1_25transform_config_selectorIN6thrust23THRUST_200600_302600_NS5tupleIffNS6_9null_typeES8_S8_S8_S8_S8_S8_S8_EELb0EEEZNS1_14transform_implILb0ES3_SA_PS9_NS6_6detail15normal_iteratorINS6_10device_ptrIS9_EEEENS0_8identityIS9_EEEE10hipError_tT2_T3_mT4_P12ihipStream_tbEUlT_E_NS1_11comp_targetILNS1_3genE10ELNS1_11target_archE1201ELNS1_3gpuE5ELNS1_3repE0EEENS1_30default_config_static_selectorELNS0_4arch9wavefront6targetE1EEEvT1_ ; -- Begin function _ZN7rocprim17ROCPRIM_400000_NS6detail17trampoline_kernelINS0_14default_configENS1_25transform_config_selectorIN6thrust23THRUST_200600_302600_NS5tupleIffNS6_9null_typeES8_S8_S8_S8_S8_S8_S8_EELb0EEEZNS1_14transform_implILb0ES3_SA_PS9_NS6_6detail15normal_iteratorINS6_10device_ptrIS9_EEEENS0_8identityIS9_EEEE10hipError_tT2_T3_mT4_P12ihipStream_tbEUlT_E_NS1_11comp_targetILNS1_3genE10ELNS1_11target_archE1201ELNS1_3gpuE5ELNS1_3repE0EEENS1_30default_config_static_selectorELNS0_4arch9wavefront6targetE1EEEvT1_
	.globl	_ZN7rocprim17ROCPRIM_400000_NS6detail17trampoline_kernelINS0_14default_configENS1_25transform_config_selectorIN6thrust23THRUST_200600_302600_NS5tupleIffNS6_9null_typeES8_S8_S8_S8_S8_S8_S8_EELb0EEEZNS1_14transform_implILb0ES3_SA_PS9_NS6_6detail15normal_iteratorINS6_10device_ptrIS9_EEEENS0_8identityIS9_EEEE10hipError_tT2_T3_mT4_P12ihipStream_tbEUlT_E_NS1_11comp_targetILNS1_3genE10ELNS1_11target_archE1201ELNS1_3gpuE5ELNS1_3repE0EEENS1_30default_config_static_selectorELNS0_4arch9wavefront6targetE1EEEvT1_
	.p2align	8
	.type	_ZN7rocprim17ROCPRIM_400000_NS6detail17trampoline_kernelINS0_14default_configENS1_25transform_config_selectorIN6thrust23THRUST_200600_302600_NS5tupleIffNS6_9null_typeES8_S8_S8_S8_S8_S8_S8_EELb0EEEZNS1_14transform_implILb0ES3_SA_PS9_NS6_6detail15normal_iteratorINS6_10device_ptrIS9_EEEENS0_8identityIS9_EEEE10hipError_tT2_T3_mT4_P12ihipStream_tbEUlT_E_NS1_11comp_targetILNS1_3genE10ELNS1_11target_archE1201ELNS1_3gpuE5ELNS1_3repE0EEENS1_30default_config_static_selectorELNS0_4arch9wavefront6targetE1EEEvT1_,@function
_ZN7rocprim17ROCPRIM_400000_NS6detail17trampoline_kernelINS0_14default_configENS1_25transform_config_selectorIN6thrust23THRUST_200600_302600_NS5tupleIffNS6_9null_typeES8_S8_S8_S8_S8_S8_S8_EELb0EEEZNS1_14transform_implILb0ES3_SA_PS9_NS6_6detail15normal_iteratorINS6_10device_ptrIS9_EEEENS0_8identityIS9_EEEE10hipError_tT2_T3_mT4_P12ihipStream_tbEUlT_E_NS1_11comp_targetILNS1_3genE10ELNS1_11target_archE1201ELNS1_3gpuE5ELNS1_3repE0EEENS1_30default_config_static_selectorELNS0_4arch9wavefront6targetE1EEEvT1_: ; @_ZN7rocprim17ROCPRIM_400000_NS6detail17trampoline_kernelINS0_14default_configENS1_25transform_config_selectorIN6thrust23THRUST_200600_302600_NS5tupleIffNS6_9null_typeES8_S8_S8_S8_S8_S8_S8_EELb0EEEZNS1_14transform_implILb0ES3_SA_PS9_NS6_6detail15normal_iteratorINS6_10device_ptrIS9_EEEENS0_8identityIS9_EEEE10hipError_tT2_T3_mT4_P12ihipStream_tbEUlT_E_NS1_11comp_targetILNS1_3genE10ELNS1_11target_archE1201ELNS1_3gpuE5ELNS1_3repE0EEENS1_30default_config_static_selectorELNS0_4arch9wavefront6targetE1EEEvT1_
; %bb.0:
	.section	.rodata,"a",@progbits
	.p2align	6, 0x0
	.amdhsa_kernel _ZN7rocprim17ROCPRIM_400000_NS6detail17trampoline_kernelINS0_14default_configENS1_25transform_config_selectorIN6thrust23THRUST_200600_302600_NS5tupleIffNS6_9null_typeES8_S8_S8_S8_S8_S8_S8_EELb0EEEZNS1_14transform_implILb0ES3_SA_PS9_NS6_6detail15normal_iteratorINS6_10device_ptrIS9_EEEENS0_8identityIS9_EEEE10hipError_tT2_T3_mT4_P12ihipStream_tbEUlT_E_NS1_11comp_targetILNS1_3genE10ELNS1_11target_archE1201ELNS1_3gpuE5ELNS1_3repE0EEENS1_30default_config_static_selectorELNS0_4arch9wavefront6targetE1EEEvT1_
		.amdhsa_group_segment_fixed_size 0
		.amdhsa_private_segment_fixed_size 0
		.amdhsa_kernarg_size 40
		.amdhsa_user_sgpr_count 2
		.amdhsa_user_sgpr_dispatch_ptr 0
		.amdhsa_user_sgpr_queue_ptr 0
		.amdhsa_user_sgpr_kernarg_segment_ptr 1
		.amdhsa_user_sgpr_dispatch_id 0
		.amdhsa_user_sgpr_kernarg_preload_length 0
		.amdhsa_user_sgpr_kernarg_preload_offset 0
		.amdhsa_user_sgpr_private_segment_size 0
		.amdhsa_uses_dynamic_stack 0
		.amdhsa_enable_private_segment 0
		.amdhsa_system_sgpr_workgroup_id_x 1
		.amdhsa_system_sgpr_workgroup_id_y 0
		.amdhsa_system_sgpr_workgroup_id_z 0
		.amdhsa_system_sgpr_workgroup_info 0
		.amdhsa_system_vgpr_workitem_id 0
		.amdhsa_next_free_vgpr 1
		.amdhsa_next_free_sgpr 0
		.amdhsa_accum_offset 4
		.amdhsa_reserve_vcc 0
		.amdhsa_float_round_mode_32 0
		.amdhsa_float_round_mode_16_64 0
		.amdhsa_float_denorm_mode_32 3
		.amdhsa_float_denorm_mode_16_64 3
		.amdhsa_dx10_clamp 1
		.amdhsa_ieee_mode 1
		.amdhsa_fp16_overflow 0
		.amdhsa_tg_split 0
		.amdhsa_exception_fp_ieee_invalid_op 0
		.amdhsa_exception_fp_denorm_src 0
		.amdhsa_exception_fp_ieee_div_zero 0
		.amdhsa_exception_fp_ieee_overflow 0
		.amdhsa_exception_fp_ieee_underflow 0
		.amdhsa_exception_fp_ieee_inexact 0
		.amdhsa_exception_int_div_zero 0
	.end_amdhsa_kernel
	.section	.text._ZN7rocprim17ROCPRIM_400000_NS6detail17trampoline_kernelINS0_14default_configENS1_25transform_config_selectorIN6thrust23THRUST_200600_302600_NS5tupleIffNS6_9null_typeES8_S8_S8_S8_S8_S8_S8_EELb0EEEZNS1_14transform_implILb0ES3_SA_PS9_NS6_6detail15normal_iteratorINS6_10device_ptrIS9_EEEENS0_8identityIS9_EEEE10hipError_tT2_T3_mT4_P12ihipStream_tbEUlT_E_NS1_11comp_targetILNS1_3genE10ELNS1_11target_archE1201ELNS1_3gpuE5ELNS1_3repE0EEENS1_30default_config_static_selectorELNS0_4arch9wavefront6targetE1EEEvT1_,"axG",@progbits,_ZN7rocprim17ROCPRIM_400000_NS6detail17trampoline_kernelINS0_14default_configENS1_25transform_config_selectorIN6thrust23THRUST_200600_302600_NS5tupleIffNS6_9null_typeES8_S8_S8_S8_S8_S8_S8_EELb0EEEZNS1_14transform_implILb0ES3_SA_PS9_NS6_6detail15normal_iteratorINS6_10device_ptrIS9_EEEENS0_8identityIS9_EEEE10hipError_tT2_T3_mT4_P12ihipStream_tbEUlT_E_NS1_11comp_targetILNS1_3genE10ELNS1_11target_archE1201ELNS1_3gpuE5ELNS1_3repE0EEENS1_30default_config_static_selectorELNS0_4arch9wavefront6targetE1EEEvT1_,comdat
.Lfunc_end80:
	.size	_ZN7rocprim17ROCPRIM_400000_NS6detail17trampoline_kernelINS0_14default_configENS1_25transform_config_selectorIN6thrust23THRUST_200600_302600_NS5tupleIffNS6_9null_typeES8_S8_S8_S8_S8_S8_S8_EELb0EEEZNS1_14transform_implILb0ES3_SA_PS9_NS6_6detail15normal_iteratorINS6_10device_ptrIS9_EEEENS0_8identityIS9_EEEE10hipError_tT2_T3_mT4_P12ihipStream_tbEUlT_E_NS1_11comp_targetILNS1_3genE10ELNS1_11target_archE1201ELNS1_3gpuE5ELNS1_3repE0EEENS1_30default_config_static_selectorELNS0_4arch9wavefront6targetE1EEEvT1_, .Lfunc_end80-_ZN7rocprim17ROCPRIM_400000_NS6detail17trampoline_kernelINS0_14default_configENS1_25transform_config_selectorIN6thrust23THRUST_200600_302600_NS5tupleIffNS6_9null_typeES8_S8_S8_S8_S8_S8_S8_EELb0EEEZNS1_14transform_implILb0ES3_SA_PS9_NS6_6detail15normal_iteratorINS6_10device_ptrIS9_EEEENS0_8identityIS9_EEEE10hipError_tT2_T3_mT4_P12ihipStream_tbEUlT_E_NS1_11comp_targetILNS1_3genE10ELNS1_11target_archE1201ELNS1_3gpuE5ELNS1_3repE0EEENS1_30default_config_static_selectorELNS0_4arch9wavefront6targetE1EEEvT1_
                                        ; -- End function
	.section	.AMDGPU.csdata,"",@progbits
; Kernel info:
; codeLenInByte = 0
; NumSgprs: 6
; NumVgprs: 0
; NumAgprs: 0
; TotalNumVgprs: 0
; ScratchSize: 0
; MemoryBound: 0
; FloatMode: 240
; IeeeMode: 1
; LDSByteSize: 0 bytes/workgroup (compile time only)
; SGPRBlocks: 0
; VGPRBlocks: 0
; NumSGPRsForWavesPerEU: 6
; NumVGPRsForWavesPerEU: 1
; AccumOffset: 4
; Occupancy: 8
; WaveLimiterHint : 0
; COMPUTE_PGM_RSRC2:SCRATCH_EN: 0
; COMPUTE_PGM_RSRC2:USER_SGPR: 2
; COMPUTE_PGM_RSRC2:TRAP_HANDLER: 0
; COMPUTE_PGM_RSRC2:TGID_X_EN: 1
; COMPUTE_PGM_RSRC2:TGID_Y_EN: 0
; COMPUTE_PGM_RSRC2:TGID_Z_EN: 0
; COMPUTE_PGM_RSRC2:TIDIG_COMP_CNT: 0
; COMPUTE_PGM_RSRC3_GFX90A:ACCUM_OFFSET: 0
; COMPUTE_PGM_RSRC3_GFX90A:TG_SPLIT: 0
	.section	.text._ZN7rocprim17ROCPRIM_400000_NS6detail17trampoline_kernelINS0_14default_configENS1_25transform_config_selectorIN6thrust23THRUST_200600_302600_NS5tupleIffNS6_9null_typeES8_S8_S8_S8_S8_S8_S8_EELb0EEEZNS1_14transform_implILb0ES3_SA_PS9_NS6_6detail15normal_iteratorINS6_10device_ptrIS9_EEEENS0_8identityIS9_EEEE10hipError_tT2_T3_mT4_P12ihipStream_tbEUlT_E_NS1_11comp_targetILNS1_3genE10ELNS1_11target_archE1200ELNS1_3gpuE4ELNS1_3repE0EEENS1_30default_config_static_selectorELNS0_4arch9wavefront6targetE1EEEvT1_,"axG",@progbits,_ZN7rocprim17ROCPRIM_400000_NS6detail17trampoline_kernelINS0_14default_configENS1_25transform_config_selectorIN6thrust23THRUST_200600_302600_NS5tupleIffNS6_9null_typeES8_S8_S8_S8_S8_S8_S8_EELb0EEEZNS1_14transform_implILb0ES3_SA_PS9_NS6_6detail15normal_iteratorINS6_10device_ptrIS9_EEEENS0_8identityIS9_EEEE10hipError_tT2_T3_mT4_P12ihipStream_tbEUlT_E_NS1_11comp_targetILNS1_3genE10ELNS1_11target_archE1200ELNS1_3gpuE4ELNS1_3repE0EEENS1_30default_config_static_selectorELNS0_4arch9wavefront6targetE1EEEvT1_,comdat
	.protected	_ZN7rocprim17ROCPRIM_400000_NS6detail17trampoline_kernelINS0_14default_configENS1_25transform_config_selectorIN6thrust23THRUST_200600_302600_NS5tupleIffNS6_9null_typeES8_S8_S8_S8_S8_S8_S8_EELb0EEEZNS1_14transform_implILb0ES3_SA_PS9_NS6_6detail15normal_iteratorINS6_10device_ptrIS9_EEEENS0_8identityIS9_EEEE10hipError_tT2_T3_mT4_P12ihipStream_tbEUlT_E_NS1_11comp_targetILNS1_3genE10ELNS1_11target_archE1200ELNS1_3gpuE4ELNS1_3repE0EEENS1_30default_config_static_selectorELNS0_4arch9wavefront6targetE1EEEvT1_ ; -- Begin function _ZN7rocprim17ROCPRIM_400000_NS6detail17trampoline_kernelINS0_14default_configENS1_25transform_config_selectorIN6thrust23THRUST_200600_302600_NS5tupleIffNS6_9null_typeES8_S8_S8_S8_S8_S8_S8_EELb0EEEZNS1_14transform_implILb0ES3_SA_PS9_NS6_6detail15normal_iteratorINS6_10device_ptrIS9_EEEENS0_8identityIS9_EEEE10hipError_tT2_T3_mT4_P12ihipStream_tbEUlT_E_NS1_11comp_targetILNS1_3genE10ELNS1_11target_archE1200ELNS1_3gpuE4ELNS1_3repE0EEENS1_30default_config_static_selectorELNS0_4arch9wavefront6targetE1EEEvT1_
	.globl	_ZN7rocprim17ROCPRIM_400000_NS6detail17trampoline_kernelINS0_14default_configENS1_25transform_config_selectorIN6thrust23THRUST_200600_302600_NS5tupleIffNS6_9null_typeES8_S8_S8_S8_S8_S8_S8_EELb0EEEZNS1_14transform_implILb0ES3_SA_PS9_NS6_6detail15normal_iteratorINS6_10device_ptrIS9_EEEENS0_8identityIS9_EEEE10hipError_tT2_T3_mT4_P12ihipStream_tbEUlT_E_NS1_11comp_targetILNS1_3genE10ELNS1_11target_archE1200ELNS1_3gpuE4ELNS1_3repE0EEENS1_30default_config_static_selectorELNS0_4arch9wavefront6targetE1EEEvT1_
	.p2align	8
	.type	_ZN7rocprim17ROCPRIM_400000_NS6detail17trampoline_kernelINS0_14default_configENS1_25transform_config_selectorIN6thrust23THRUST_200600_302600_NS5tupleIffNS6_9null_typeES8_S8_S8_S8_S8_S8_S8_EELb0EEEZNS1_14transform_implILb0ES3_SA_PS9_NS6_6detail15normal_iteratorINS6_10device_ptrIS9_EEEENS0_8identityIS9_EEEE10hipError_tT2_T3_mT4_P12ihipStream_tbEUlT_E_NS1_11comp_targetILNS1_3genE10ELNS1_11target_archE1200ELNS1_3gpuE4ELNS1_3repE0EEENS1_30default_config_static_selectorELNS0_4arch9wavefront6targetE1EEEvT1_,@function
_ZN7rocprim17ROCPRIM_400000_NS6detail17trampoline_kernelINS0_14default_configENS1_25transform_config_selectorIN6thrust23THRUST_200600_302600_NS5tupleIffNS6_9null_typeES8_S8_S8_S8_S8_S8_S8_EELb0EEEZNS1_14transform_implILb0ES3_SA_PS9_NS6_6detail15normal_iteratorINS6_10device_ptrIS9_EEEENS0_8identityIS9_EEEE10hipError_tT2_T3_mT4_P12ihipStream_tbEUlT_E_NS1_11comp_targetILNS1_3genE10ELNS1_11target_archE1200ELNS1_3gpuE4ELNS1_3repE0EEENS1_30default_config_static_selectorELNS0_4arch9wavefront6targetE1EEEvT1_: ; @_ZN7rocprim17ROCPRIM_400000_NS6detail17trampoline_kernelINS0_14default_configENS1_25transform_config_selectorIN6thrust23THRUST_200600_302600_NS5tupleIffNS6_9null_typeES8_S8_S8_S8_S8_S8_S8_EELb0EEEZNS1_14transform_implILb0ES3_SA_PS9_NS6_6detail15normal_iteratorINS6_10device_ptrIS9_EEEENS0_8identityIS9_EEEE10hipError_tT2_T3_mT4_P12ihipStream_tbEUlT_E_NS1_11comp_targetILNS1_3genE10ELNS1_11target_archE1200ELNS1_3gpuE4ELNS1_3repE0EEENS1_30default_config_static_selectorELNS0_4arch9wavefront6targetE1EEEvT1_
; %bb.0:
	.section	.rodata,"a",@progbits
	.p2align	6, 0x0
	.amdhsa_kernel _ZN7rocprim17ROCPRIM_400000_NS6detail17trampoline_kernelINS0_14default_configENS1_25transform_config_selectorIN6thrust23THRUST_200600_302600_NS5tupleIffNS6_9null_typeES8_S8_S8_S8_S8_S8_S8_EELb0EEEZNS1_14transform_implILb0ES3_SA_PS9_NS6_6detail15normal_iteratorINS6_10device_ptrIS9_EEEENS0_8identityIS9_EEEE10hipError_tT2_T3_mT4_P12ihipStream_tbEUlT_E_NS1_11comp_targetILNS1_3genE10ELNS1_11target_archE1200ELNS1_3gpuE4ELNS1_3repE0EEENS1_30default_config_static_selectorELNS0_4arch9wavefront6targetE1EEEvT1_
		.amdhsa_group_segment_fixed_size 0
		.amdhsa_private_segment_fixed_size 0
		.amdhsa_kernarg_size 40
		.amdhsa_user_sgpr_count 2
		.amdhsa_user_sgpr_dispatch_ptr 0
		.amdhsa_user_sgpr_queue_ptr 0
		.amdhsa_user_sgpr_kernarg_segment_ptr 1
		.amdhsa_user_sgpr_dispatch_id 0
		.amdhsa_user_sgpr_kernarg_preload_length 0
		.amdhsa_user_sgpr_kernarg_preload_offset 0
		.amdhsa_user_sgpr_private_segment_size 0
		.amdhsa_uses_dynamic_stack 0
		.amdhsa_enable_private_segment 0
		.amdhsa_system_sgpr_workgroup_id_x 1
		.amdhsa_system_sgpr_workgroup_id_y 0
		.amdhsa_system_sgpr_workgroup_id_z 0
		.amdhsa_system_sgpr_workgroup_info 0
		.amdhsa_system_vgpr_workitem_id 0
		.amdhsa_next_free_vgpr 1
		.amdhsa_next_free_sgpr 0
		.amdhsa_accum_offset 4
		.amdhsa_reserve_vcc 0
		.amdhsa_float_round_mode_32 0
		.amdhsa_float_round_mode_16_64 0
		.amdhsa_float_denorm_mode_32 3
		.amdhsa_float_denorm_mode_16_64 3
		.amdhsa_dx10_clamp 1
		.amdhsa_ieee_mode 1
		.amdhsa_fp16_overflow 0
		.amdhsa_tg_split 0
		.amdhsa_exception_fp_ieee_invalid_op 0
		.amdhsa_exception_fp_denorm_src 0
		.amdhsa_exception_fp_ieee_div_zero 0
		.amdhsa_exception_fp_ieee_overflow 0
		.amdhsa_exception_fp_ieee_underflow 0
		.amdhsa_exception_fp_ieee_inexact 0
		.amdhsa_exception_int_div_zero 0
	.end_amdhsa_kernel
	.section	.text._ZN7rocprim17ROCPRIM_400000_NS6detail17trampoline_kernelINS0_14default_configENS1_25transform_config_selectorIN6thrust23THRUST_200600_302600_NS5tupleIffNS6_9null_typeES8_S8_S8_S8_S8_S8_S8_EELb0EEEZNS1_14transform_implILb0ES3_SA_PS9_NS6_6detail15normal_iteratorINS6_10device_ptrIS9_EEEENS0_8identityIS9_EEEE10hipError_tT2_T3_mT4_P12ihipStream_tbEUlT_E_NS1_11comp_targetILNS1_3genE10ELNS1_11target_archE1200ELNS1_3gpuE4ELNS1_3repE0EEENS1_30default_config_static_selectorELNS0_4arch9wavefront6targetE1EEEvT1_,"axG",@progbits,_ZN7rocprim17ROCPRIM_400000_NS6detail17trampoline_kernelINS0_14default_configENS1_25transform_config_selectorIN6thrust23THRUST_200600_302600_NS5tupleIffNS6_9null_typeES8_S8_S8_S8_S8_S8_S8_EELb0EEEZNS1_14transform_implILb0ES3_SA_PS9_NS6_6detail15normal_iteratorINS6_10device_ptrIS9_EEEENS0_8identityIS9_EEEE10hipError_tT2_T3_mT4_P12ihipStream_tbEUlT_E_NS1_11comp_targetILNS1_3genE10ELNS1_11target_archE1200ELNS1_3gpuE4ELNS1_3repE0EEENS1_30default_config_static_selectorELNS0_4arch9wavefront6targetE1EEEvT1_,comdat
.Lfunc_end81:
	.size	_ZN7rocprim17ROCPRIM_400000_NS6detail17trampoline_kernelINS0_14default_configENS1_25transform_config_selectorIN6thrust23THRUST_200600_302600_NS5tupleIffNS6_9null_typeES8_S8_S8_S8_S8_S8_S8_EELb0EEEZNS1_14transform_implILb0ES3_SA_PS9_NS6_6detail15normal_iteratorINS6_10device_ptrIS9_EEEENS0_8identityIS9_EEEE10hipError_tT2_T3_mT4_P12ihipStream_tbEUlT_E_NS1_11comp_targetILNS1_3genE10ELNS1_11target_archE1200ELNS1_3gpuE4ELNS1_3repE0EEENS1_30default_config_static_selectorELNS0_4arch9wavefront6targetE1EEEvT1_, .Lfunc_end81-_ZN7rocprim17ROCPRIM_400000_NS6detail17trampoline_kernelINS0_14default_configENS1_25transform_config_selectorIN6thrust23THRUST_200600_302600_NS5tupleIffNS6_9null_typeES8_S8_S8_S8_S8_S8_S8_EELb0EEEZNS1_14transform_implILb0ES3_SA_PS9_NS6_6detail15normal_iteratorINS6_10device_ptrIS9_EEEENS0_8identityIS9_EEEE10hipError_tT2_T3_mT4_P12ihipStream_tbEUlT_E_NS1_11comp_targetILNS1_3genE10ELNS1_11target_archE1200ELNS1_3gpuE4ELNS1_3repE0EEENS1_30default_config_static_selectorELNS0_4arch9wavefront6targetE1EEEvT1_
                                        ; -- End function
	.section	.AMDGPU.csdata,"",@progbits
; Kernel info:
; codeLenInByte = 0
; NumSgprs: 6
; NumVgprs: 0
; NumAgprs: 0
; TotalNumVgprs: 0
; ScratchSize: 0
; MemoryBound: 0
; FloatMode: 240
; IeeeMode: 1
; LDSByteSize: 0 bytes/workgroup (compile time only)
; SGPRBlocks: 0
; VGPRBlocks: 0
; NumSGPRsForWavesPerEU: 6
; NumVGPRsForWavesPerEU: 1
; AccumOffset: 4
; Occupancy: 8
; WaveLimiterHint : 0
; COMPUTE_PGM_RSRC2:SCRATCH_EN: 0
; COMPUTE_PGM_RSRC2:USER_SGPR: 2
; COMPUTE_PGM_RSRC2:TRAP_HANDLER: 0
; COMPUTE_PGM_RSRC2:TGID_X_EN: 1
; COMPUTE_PGM_RSRC2:TGID_Y_EN: 0
; COMPUTE_PGM_RSRC2:TGID_Z_EN: 0
; COMPUTE_PGM_RSRC2:TIDIG_COMP_CNT: 0
; COMPUTE_PGM_RSRC3_GFX90A:ACCUM_OFFSET: 0
; COMPUTE_PGM_RSRC3_GFX90A:TG_SPLIT: 0
	.section	.text._ZN7rocprim17ROCPRIM_400000_NS6detail17trampoline_kernelINS0_14default_configENS1_25transform_config_selectorIN6thrust23THRUST_200600_302600_NS5tupleIffNS6_9null_typeES8_S8_S8_S8_S8_S8_S8_EELb0EEEZNS1_14transform_implILb0ES3_SA_PS9_NS6_6detail15normal_iteratorINS6_10device_ptrIS9_EEEENS0_8identityIS9_EEEE10hipError_tT2_T3_mT4_P12ihipStream_tbEUlT_E_NS1_11comp_targetILNS1_3genE9ELNS1_11target_archE1100ELNS1_3gpuE3ELNS1_3repE0EEENS1_30default_config_static_selectorELNS0_4arch9wavefront6targetE1EEEvT1_,"axG",@progbits,_ZN7rocprim17ROCPRIM_400000_NS6detail17trampoline_kernelINS0_14default_configENS1_25transform_config_selectorIN6thrust23THRUST_200600_302600_NS5tupleIffNS6_9null_typeES8_S8_S8_S8_S8_S8_S8_EELb0EEEZNS1_14transform_implILb0ES3_SA_PS9_NS6_6detail15normal_iteratorINS6_10device_ptrIS9_EEEENS0_8identityIS9_EEEE10hipError_tT2_T3_mT4_P12ihipStream_tbEUlT_E_NS1_11comp_targetILNS1_3genE9ELNS1_11target_archE1100ELNS1_3gpuE3ELNS1_3repE0EEENS1_30default_config_static_selectorELNS0_4arch9wavefront6targetE1EEEvT1_,comdat
	.protected	_ZN7rocprim17ROCPRIM_400000_NS6detail17trampoline_kernelINS0_14default_configENS1_25transform_config_selectorIN6thrust23THRUST_200600_302600_NS5tupleIffNS6_9null_typeES8_S8_S8_S8_S8_S8_S8_EELb0EEEZNS1_14transform_implILb0ES3_SA_PS9_NS6_6detail15normal_iteratorINS6_10device_ptrIS9_EEEENS0_8identityIS9_EEEE10hipError_tT2_T3_mT4_P12ihipStream_tbEUlT_E_NS1_11comp_targetILNS1_3genE9ELNS1_11target_archE1100ELNS1_3gpuE3ELNS1_3repE0EEENS1_30default_config_static_selectorELNS0_4arch9wavefront6targetE1EEEvT1_ ; -- Begin function _ZN7rocprim17ROCPRIM_400000_NS6detail17trampoline_kernelINS0_14default_configENS1_25transform_config_selectorIN6thrust23THRUST_200600_302600_NS5tupleIffNS6_9null_typeES8_S8_S8_S8_S8_S8_S8_EELb0EEEZNS1_14transform_implILb0ES3_SA_PS9_NS6_6detail15normal_iteratorINS6_10device_ptrIS9_EEEENS0_8identityIS9_EEEE10hipError_tT2_T3_mT4_P12ihipStream_tbEUlT_E_NS1_11comp_targetILNS1_3genE9ELNS1_11target_archE1100ELNS1_3gpuE3ELNS1_3repE0EEENS1_30default_config_static_selectorELNS0_4arch9wavefront6targetE1EEEvT1_
	.globl	_ZN7rocprim17ROCPRIM_400000_NS6detail17trampoline_kernelINS0_14default_configENS1_25transform_config_selectorIN6thrust23THRUST_200600_302600_NS5tupleIffNS6_9null_typeES8_S8_S8_S8_S8_S8_S8_EELb0EEEZNS1_14transform_implILb0ES3_SA_PS9_NS6_6detail15normal_iteratorINS6_10device_ptrIS9_EEEENS0_8identityIS9_EEEE10hipError_tT2_T3_mT4_P12ihipStream_tbEUlT_E_NS1_11comp_targetILNS1_3genE9ELNS1_11target_archE1100ELNS1_3gpuE3ELNS1_3repE0EEENS1_30default_config_static_selectorELNS0_4arch9wavefront6targetE1EEEvT1_
	.p2align	8
	.type	_ZN7rocprim17ROCPRIM_400000_NS6detail17trampoline_kernelINS0_14default_configENS1_25transform_config_selectorIN6thrust23THRUST_200600_302600_NS5tupleIffNS6_9null_typeES8_S8_S8_S8_S8_S8_S8_EELb0EEEZNS1_14transform_implILb0ES3_SA_PS9_NS6_6detail15normal_iteratorINS6_10device_ptrIS9_EEEENS0_8identityIS9_EEEE10hipError_tT2_T3_mT4_P12ihipStream_tbEUlT_E_NS1_11comp_targetILNS1_3genE9ELNS1_11target_archE1100ELNS1_3gpuE3ELNS1_3repE0EEENS1_30default_config_static_selectorELNS0_4arch9wavefront6targetE1EEEvT1_,@function
_ZN7rocprim17ROCPRIM_400000_NS6detail17trampoline_kernelINS0_14default_configENS1_25transform_config_selectorIN6thrust23THRUST_200600_302600_NS5tupleIffNS6_9null_typeES8_S8_S8_S8_S8_S8_S8_EELb0EEEZNS1_14transform_implILb0ES3_SA_PS9_NS6_6detail15normal_iteratorINS6_10device_ptrIS9_EEEENS0_8identityIS9_EEEE10hipError_tT2_T3_mT4_P12ihipStream_tbEUlT_E_NS1_11comp_targetILNS1_3genE9ELNS1_11target_archE1100ELNS1_3gpuE3ELNS1_3repE0EEENS1_30default_config_static_selectorELNS0_4arch9wavefront6targetE1EEEvT1_: ; @_ZN7rocprim17ROCPRIM_400000_NS6detail17trampoline_kernelINS0_14default_configENS1_25transform_config_selectorIN6thrust23THRUST_200600_302600_NS5tupleIffNS6_9null_typeES8_S8_S8_S8_S8_S8_S8_EELb0EEEZNS1_14transform_implILb0ES3_SA_PS9_NS6_6detail15normal_iteratorINS6_10device_ptrIS9_EEEENS0_8identityIS9_EEEE10hipError_tT2_T3_mT4_P12ihipStream_tbEUlT_E_NS1_11comp_targetILNS1_3genE9ELNS1_11target_archE1100ELNS1_3gpuE3ELNS1_3repE0EEENS1_30default_config_static_selectorELNS0_4arch9wavefront6targetE1EEEvT1_
; %bb.0:
	.section	.rodata,"a",@progbits
	.p2align	6, 0x0
	.amdhsa_kernel _ZN7rocprim17ROCPRIM_400000_NS6detail17trampoline_kernelINS0_14default_configENS1_25transform_config_selectorIN6thrust23THRUST_200600_302600_NS5tupleIffNS6_9null_typeES8_S8_S8_S8_S8_S8_S8_EELb0EEEZNS1_14transform_implILb0ES3_SA_PS9_NS6_6detail15normal_iteratorINS6_10device_ptrIS9_EEEENS0_8identityIS9_EEEE10hipError_tT2_T3_mT4_P12ihipStream_tbEUlT_E_NS1_11comp_targetILNS1_3genE9ELNS1_11target_archE1100ELNS1_3gpuE3ELNS1_3repE0EEENS1_30default_config_static_selectorELNS0_4arch9wavefront6targetE1EEEvT1_
		.amdhsa_group_segment_fixed_size 0
		.amdhsa_private_segment_fixed_size 0
		.amdhsa_kernarg_size 40
		.amdhsa_user_sgpr_count 2
		.amdhsa_user_sgpr_dispatch_ptr 0
		.amdhsa_user_sgpr_queue_ptr 0
		.amdhsa_user_sgpr_kernarg_segment_ptr 1
		.amdhsa_user_sgpr_dispatch_id 0
		.amdhsa_user_sgpr_kernarg_preload_length 0
		.amdhsa_user_sgpr_kernarg_preload_offset 0
		.amdhsa_user_sgpr_private_segment_size 0
		.amdhsa_uses_dynamic_stack 0
		.amdhsa_enable_private_segment 0
		.amdhsa_system_sgpr_workgroup_id_x 1
		.amdhsa_system_sgpr_workgroup_id_y 0
		.amdhsa_system_sgpr_workgroup_id_z 0
		.amdhsa_system_sgpr_workgroup_info 0
		.amdhsa_system_vgpr_workitem_id 0
		.amdhsa_next_free_vgpr 1
		.amdhsa_next_free_sgpr 0
		.amdhsa_accum_offset 4
		.amdhsa_reserve_vcc 0
		.amdhsa_float_round_mode_32 0
		.amdhsa_float_round_mode_16_64 0
		.amdhsa_float_denorm_mode_32 3
		.amdhsa_float_denorm_mode_16_64 3
		.amdhsa_dx10_clamp 1
		.amdhsa_ieee_mode 1
		.amdhsa_fp16_overflow 0
		.amdhsa_tg_split 0
		.amdhsa_exception_fp_ieee_invalid_op 0
		.amdhsa_exception_fp_denorm_src 0
		.amdhsa_exception_fp_ieee_div_zero 0
		.amdhsa_exception_fp_ieee_overflow 0
		.amdhsa_exception_fp_ieee_underflow 0
		.amdhsa_exception_fp_ieee_inexact 0
		.amdhsa_exception_int_div_zero 0
	.end_amdhsa_kernel
	.section	.text._ZN7rocprim17ROCPRIM_400000_NS6detail17trampoline_kernelINS0_14default_configENS1_25transform_config_selectorIN6thrust23THRUST_200600_302600_NS5tupleIffNS6_9null_typeES8_S8_S8_S8_S8_S8_S8_EELb0EEEZNS1_14transform_implILb0ES3_SA_PS9_NS6_6detail15normal_iteratorINS6_10device_ptrIS9_EEEENS0_8identityIS9_EEEE10hipError_tT2_T3_mT4_P12ihipStream_tbEUlT_E_NS1_11comp_targetILNS1_3genE9ELNS1_11target_archE1100ELNS1_3gpuE3ELNS1_3repE0EEENS1_30default_config_static_selectorELNS0_4arch9wavefront6targetE1EEEvT1_,"axG",@progbits,_ZN7rocprim17ROCPRIM_400000_NS6detail17trampoline_kernelINS0_14default_configENS1_25transform_config_selectorIN6thrust23THRUST_200600_302600_NS5tupleIffNS6_9null_typeES8_S8_S8_S8_S8_S8_S8_EELb0EEEZNS1_14transform_implILb0ES3_SA_PS9_NS6_6detail15normal_iteratorINS6_10device_ptrIS9_EEEENS0_8identityIS9_EEEE10hipError_tT2_T3_mT4_P12ihipStream_tbEUlT_E_NS1_11comp_targetILNS1_3genE9ELNS1_11target_archE1100ELNS1_3gpuE3ELNS1_3repE0EEENS1_30default_config_static_selectorELNS0_4arch9wavefront6targetE1EEEvT1_,comdat
.Lfunc_end82:
	.size	_ZN7rocprim17ROCPRIM_400000_NS6detail17trampoline_kernelINS0_14default_configENS1_25transform_config_selectorIN6thrust23THRUST_200600_302600_NS5tupleIffNS6_9null_typeES8_S8_S8_S8_S8_S8_S8_EELb0EEEZNS1_14transform_implILb0ES3_SA_PS9_NS6_6detail15normal_iteratorINS6_10device_ptrIS9_EEEENS0_8identityIS9_EEEE10hipError_tT2_T3_mT4_P12ihipStream_tbEUlT_E_NS1_11comp_targetILNS1_3genE9ELNS1_11target_archE1100ELNS1_3gpuE3ELNS1_3repE0EEENS1_30default_config_static_selectorELNS0_4arch9wavefront6targetE1EEEvT1_, .Lfunc_end82-_ZN7rocprim17ROCPRIM_400000_NS6detail17trampoline_kernelINS0_14default_configENS1_25transform_config_selectorIN6thrust23THRUST_200600_302600_NS5tupleIffNS6_9null_typeES8_S8_S8_S8_S8_S8_S8_EELb0EEEZNS1_14transform_implILb0ES3_SA_PS9_NS6_6detail15normal_iteratorINS6_10device_ptrIS9_EEEENS0_8identityIS9_EEEE10hipError_tT2_T3_mT4_P12ihipStream_tbEUlT_E_NS1_11comp_targetILNS1_3genE9ELNS1_11target_archE1100ELNS1_3gpuE3ELNS1_3repE0EEENS1_30default_config_static_selectorELNS0_4arch9wavefront6targetE1EEEvT1_
                                        ; -- End function
	.section	.AMDGPU.csdata,"",@progbits
; Kernel info:
; codeLenInByte = 0
; NumSgprs: 6
; NumVgprs: 0
; NumAgprs: 0
; TotalNumVgprs: 0
; ScratchSize: 0
; MemoryBound: 0
; FloatMode: 240
; IeeeMode: 1
; LDSByteSize: 0 bytes/workgroup (compile time only)
; SGPRBlocks: 0
; VGPRBlocks: 0
; NumSGPRsForWavesPerEU: 6
; NumVGPRsForWavesPerEU: 1
; AccumOffset: 4
; Occupancy: 8
; WaveLimiterHint : 0
; COMPUTE_PGM_RSRC2:SCRATCH_EN: 0
; COMPUTE_PGM_RSRC2:USER_SGPR: 2
; COMPUTE_PGM_RSRC2:TRAP_HANDLER: 0
; COMPUTE_PGM_RSRC2:TGID_X_EN: 1
; COMPUTE_PGM_RSRC2:TGID_Y_EN: 0
; COMPUTE_PGM_RSRC2:TGID_Z_EN: 0
; COMPUTE_PGM_RSRC2:TIDIG_COMP_CNT: 0
; COMPUTE_PGM_RSRC3_GFX90A:ACCUM_OFFSET: 0
; COMPUTE_PGM_RSRC3_GFX90A:TG_SPLIT: 0
	.section	.text._ZN7rocprim17ROCPRIM_400000_NS6detail17trampoline_kernelINS0_14default_configENS1_25transform_config_selectorIN6thrust23THRUST_200600_302600_NS5tupleIffNS6_9null_typeES8_S8_S8_S8_S8_S8_S8_EELb0EEEZNS1_14transform_implILb0ES3_SA_PS9_NS6_6detail15normal_iteratorINS6_10device_ptrIS9_EEEENS0_8identityIS9_EEEE10hipError_tT2_T3_mT4_P12ihipStream_tbEUlT_E_NS1_11comp_targetILNS1_3genE8ELNS1_11target_archE1030ELNS1_3gpuE2ELNS1_3repE0EEENS1_30default_config_static_selectorELNS0_4arch9wavefront6targetE1EEEvT1_,"axG",@progbits,_ZN7rocprim17ROCPRIM_400000_NS6detail17trampoline_kernelINS0_14default_configENS1_25transform_config_selectorIN6thrust23THRUST_200600_302600_NS5tupleIffNS6_9null_typeES8_S8_S8_S8_S8_S8_S8_EELb0EEEZNS1_14transform_implILb0ES3_SA_PS9_NS6_6detail15normal_iteratorINS6_10device_ptrIS9_EEEENS0_8identityIS9_EEEE10hipError_tT2_T3_mT4_P12ihipStream_tbEUlT_E_NS1_11comp_targetILNS1_3genE8ELNS1_11target_archE1030ELNS1_3gpuE2ELNS1_3repE0EEENS1_30default_config_static_selectorELNS0_4arch9wavefront6targetE1EEEvT1_,comdat
	.protected	_ZN7rocprim17ROCPRIM_400000_NS6detail17trampoline_kernelINS0_14default_configENS1_25transform_config_selectorIN6thrust23THRUST_200600_302600_NS5tupleIffNS6_9null_typeES8_S8_S8_S8_S8_S8_S8_EELb0EEEZNS1_14transform_implILb0ES3_SA_PS9_NS6_6detail15normal_iteratorINS6_10device_ptrIS9_EEEENS0_8identityIS9_EEEE10hipError_tT2_T3_mT4_P12ihipStream_tbEUlT_E_NS1_11comp_targetILNS1_3genE8ELNS1_11target_archE1030ELNS1_3gpuE2ELNS1_3repE0EEENS1_30default_config_static_selectorELNS0_4arch9wavefront6targetE1EEEvT1_ ; -- Begin function _ZN7rocprim17ROCPRIM_400000_NS6detail17trampoline_kernelINS0_14default_configENS1_25transform_config_selectorIN6thrust23THRUST_200600_302600_NS5tupleIffNS6_9null_typeES8_S8_S8_S8_S8_S8_S8_EELb0EEEZNS1_14transform_implILb0ES3_SA_PS9_NS6_6detail15normal_iteratorINS6_10device_ptrIS9_EEEENS0_8identityIS9_EEEE10hipError_tT2_T3_mT4_P12ihipStream_tbEUlT_E_NS1_11comp_targetILNS1_3genE8ELNS1_11target_archE1030ELNS1_3gpuE2ELNS1_3repE0EEENS1_30default_config_static_selectorELNS0_4arch9wavefront6targetE1EEEvT1_
	.globl	_ZN7rocprim17ROCPRIM_400000_NS6detail17trampoline_kernelINS0_14default_configENS1_25transform_config_selectorIN6thrust23THRUST_200600_302600_NS5tupleIffNS6_9null_typeES8_S8_S8_S8_S8_S8_S8_EELb0EEEZNS1_14transform_implILb0ES3_SA_PS9_NS6_6detail15normal_iteratorINS6_10device_ptrIS9_EEEENS0_8identityIS9_EEEE10hipError_tT2_T3_mT4_P12ihipStream_tbEUlT_E_NS1_11comp_targetILNS1_3genE8ELNS1_11target_archE1030ELNS1_3gpuE2ELNS1_3repE0EEENS1_30default_config_static_selectorELNS0_4arch9wavefront6targetE1EEEvT1_
	.p2align	8
	.type	_ZN7rocprim17ROCPRIM_400000_NS6detail17trampoline_kernelINS0_14default_configENS1_25transform_config_selectorIN6thrust23THRUST_200600_302600_NS5tupleIffNS6_9null_typeES8_S8_S8_S8_S8_S8_S8_EELb0EEEZNS1_14transform_implILb0ES3_SA_PS9_NS6_6detail15normal_iteratorINS6_10device_ptrIS9_EEEENS0_8identityIS9_EEEE10hipError_tT2_T3_mT4_P12ihipStream_tbEUlT_E_NS1_11comp_targetILNS1_3genE8ELNS1_11target_archE1030ELNS1_3gpuE2ELNS1_3repE0EEENS1_30default_config_static_selectorELNS0_4arch9wavefront6targetE1EEEvT1_,@function
_ZN7rocprim17ROCPRIM_400000_NS6detail17trampoline_kernelINS0_14default_configENS1_25transform_config_selectorIN6thrust23THRUST_200600_302600_NS5tupleIffNS6_9null_typeES8_S8_S8_S8_S8_S8_S8_EELb0EEEZNS1_14transform_implILb0ES3_SA_PS9_NS6_6detail15normal_iteratorINS6_10device_ptrIS9_EEEENS0_8identityIS9_EEEE10hipError_tT2_T3_mT4_P12ihipStream_tbEUlT_E_NS1_11comp_targetILNS1_3genE8ELNS1_11target_archE1030ELNS1_3gpuE2ELNS1_3repE0EEENS1_30default_config_static_selectorELNS0_4arch9wavefront6targetE1EEEvT1_: ; @_ZN7rocprim17ROCPRIM_400000_NS6detail17trampoline_kernelINS0_14default_configENS1_25transform_config_selectorIN6thrust23THRUST_200600_302600_NS5tupleIffNS6_9null_typeES8_S8_S8_S8_S8_S8_S8_EELb0EEEZNS1_14transform_implILb0ES3_SA_PS9_NS6_6detail15normal_iteratorINS6_10device_ptrIS9_EEEENS0_8identityIS9_EEEE10hipError_tT2_T3_mT4_P12ihipStream_tbEUlT_E_NS1_11comp_targetILNS1_3genE8ELNS1_11target_archE1030ELNS1_3gpuE2ELNS1_3repE0EEENS1_30default_config_static_selectorELNS0_4arch9wavefront6targetE1EEEvT1_
; %bb.0:
	.section	.rodata,"a",@progbits
	.p2align	6, 0x0
	.amdhsa_kernel _ZN7rocprim17ROCPRIM_400000_NS6detail17trampoline_kernelINS0_14default_configENS1_25transform_config_selectorIN6thrust23THRUST_200600_302600_NS5tupleIffNS6_9null_typeES8_S8_S8_S8_S8_S8_S8_EELb0EEEZNS1_14transform_implILb0ES3_SA_PS9_NS6_6detail15normal_iteratorINS6_10device_ptrIS9_EEEENS0_8identityIS9_EEEE10hipError_tT2_T3_mT4_P12ihipStream_tbEUlT_E_NS1_11comp_targetILNS1_3genE8ELNS1_11target_archE1030ELNS1_3gpuE2ELNS1_3repE0EEENS1_30default_config_static_selectorELNS0_4arch9wavefront6targetE1EEEvT1_
		.amdhsa_group_segment_fixed_size 0
		.amdhsa_private_segment_fixed_size 0
		.amdhsa_kernarg_size 40
		.amdhsa_user_sgpr_count 2
		.amdhsa_user_sgpr_dispatch_ptr 0
		.amdhsa_user_sgpr_queue_ptr 0
		.amdhsa_user_sgpr_kernarg_segment_ptr 1
		.amdhsa_user_sgpr_dispatch_id 0
		.amdhsa_user_sgpr_kernarg_preload_length 0
		.amdhsa_user_sgpr_kernarg_preload_offset 0
		.amdhsa_user_sgpr_private_segment_size 0
		.amdhsa_uses_dynamic_stack 0
		.amdhsa_enable_private_segment 0
		.amdhsa_system_sgpr_workgroup_id_x 1
		.amdhsa_system_sgpr_workgroup_id_y 0
		.amdhsa_system_sgpr_workgroup_id_z 0
		.amdhsa_system_sgpr_workgroup_info 0
		.amdhsa_system_vgpr_workitem_id 0
		.amdhsa_next_free_vgpr 1
		.amdhsa_next_free_sgpr 0
		.amdhsa_accum_offset 4
		.amdhsa_reserve_vcc 0
		.amdhsa_float_round_mode_32 0
		.amdhsa_float_round_mode_16_64 0
		.amdhsa_float_denorm_mode_32 3
		.amdhsa_float_denorm_mode_16_64 3
		.amdhsa_dx10_clamp 1
		.amdhsa_ieee_mode 1
		.amdhsa_fp16_overflow 0
		.amdhsa_tg_split 0
		.amdhsa_exception_fp_ieee_invalid_op 0
		.amdhsa_exception_fp_denorm_src 0
		.amdhsa_exception_fp_ieee_div_zero 0
		.amdhsa_exception_fp_ieee_overflow 0
		.amdhsa_exception_fp_ieee_underflow 0
		.amdhsa_exception_fp_ieee_inexact 0
		.amdhsa_exception_int_div_zero 0
	.end_amdhsa_kernel
	.section	.text._ZN7rocprim17ROCPRIM_400000_NS6detail17trampoline_kernelINS0_14default_configENS1_25transform_config_selectorIN6thrust23THRUST_200600_302600_NS5tupleIffNS6_9null_typeES8_S8_S8_S8_S8_S8_S8_EELb0EEEZNS1_14transform_implILb0ES3_SA_PS9_NS6_6detail15normal_iteratorINS6_10device_ptrIS9_EEEENS0_8identityIS9_EEEE10hipError_tT2_T3_mT4_P12ihipStream_tbEUlT_E_NS1_11comp_targetILNS1_3genE8ELNS1_11target_archE1030ELNS1_3gpuE2ELNS1_3repE0EEENS1_30default_config_static_selectorELNS0_4arch9wavefront6targetE1EEEvT1_,"axG",@progbits,_ZN7rocprim17ROCPRIM_400000_NS6detail17trampoline_kernelINS0_14default_configENS1_25transform_config_selectorIN6thrust23THRUST_200600_302600_NS5tupleIffNS6_9null_typeES8_S8_S8_S8_S8_S8_S8_EELb0EEEZNS1_14transform_implILb0ES3_SA_PS9_NS6_6detail15normal_iteratorINS6_10device_ptrIS9_EEEENS0_8identityIS9_EEEE10hipError_tT2_T3_mT4_P12ihipStream_tbEUlT_E_NS1_11comp_targetILNS1_3genE8ELNS1_11target_archE1030ELNS1_3gpuE2ELNS1_3repE0EEENS1_30default_config_static_selectorELNS0_4arch9wavefront6targetE1EEEvT1_,comdat
.Lfunc_end83:
	.size	_ZN7rocprim17ROCPRIM_400000_NS6detail17trampoline_kernelINS0_14default_configENS1_25transform_config_selectorIN6thrust23THRUST_200600_302600_NS5tupleIffNS6_9null_typeES8_S8_S8_S8_S8_S8_S8_EELb0EEEZNS1_14transform_implILb0ES3_SA_PS9_NS6_6detail15normal_iteratorINS6_10device_ptrIS9_EEEENS0_8identityIS9_EEEE10hipError_tT2_T3_mT4_P12ihipStream_tbEUlT_E_NS1_11comp_targetILNS1_3genE8ELNS1_11target_archE1030ELNS1_3gpuE2ELNS1_3repE0EEENS1_30default_config_static_selectorELNS0_4arch9wavefront6targetE1EEEvT1_, .Lfunc_end83-_ZN7rocprim17ROCPRIM_400000_NS6detail17trampoline_kernelINS0_14default_configENS1_25transform_config_selectorIN6thrust23THRUST_200600_302600_NS5tupleIffNS6_9null_typeES8_S8_S8_S8_S8_S8_S8_EELb0EEEZNS1_14transform_implILb0ES3_SA_PS9_NS6_6detail15normal_iteratorINS6_10device_ptrIS9_EEEENS0_8identityIS9_EEEE10hipError_tT2_T3_mT4_P12ihipStream_tbEUlT_E_NS1_11comp_targetILNS1_3genE8ELNS1_11target_archE1030ELNS1_3gpuE2ELNS1_3repE0EEENS1_30default_config_static_selectorELNS0_4arch9wavefront6targetE1EEEvT1_
                                        ; -- End function
	.section	.AMDGPU.csdata,"",@progbits
; Kernel info:
; codeLenInByte = 0
; NumSgprs: 6
; NumVgprs: 0
; NumAgprs: 0
; TotalNumVgprs: 0
; ScratchSize: 0
; MemoryBound: 0
; FloatMode: 240
; IeeeMode: 1
; LDSByteSize: 0 bytes/workgroup (compile time only)
; SGPRBlocks: 0
; VGPRBlocks: 0
; NumSGPRsForWavesPerEU: 6
; NumVGPRsForWavesPerEU: 1
; AccumOffset: 4
; Occupancy: 8
; WaveLimiterHint : 0
; COMPUTE_PGM_RSRC2:SCRATCH_EN: 0
; COMPUTE_PGM_RSRC2:USER_SGPR: 2
; COMPUTE_PGM_RSRC2:TRAP_HANDLER: 0
; COMPUTE_PGM_RSRC2:TGID_X_EN: 1
; COMPUTE_PGM_RSRC2:TGID_Y_EN: 0
; COMPUTE_PGM_RSRC2:TGID_Z_EN: 0
; COMPUTE_PGM_RSRC2:TIDIG_COMP_CNT: 0
; COMPUTE_PGM_RSRC3_GFX90A:ACCUM_OFFSET: 0
; COMPUTE_PGM_RSRC3_GFX90A:TG_SPLIT: 0
	.section	.text._ZN7rocprim17ROCPRIM_400000_NS6detail17trampoline_kernelINS0_14default_configENS1_25transform_config_selectorINS0_10empty_typeELb1EEEZNS1_14transform_implILb1ES3_S6_PS5_S8_NS0_8identityIS5_EEEE10hipError_tT2_T3_mT4_P12ihipStream_tbEUlT_E_NS1_11comp_targetILNS1_3genE0ELNS1_11target_archE4294967295ELNS1_3gpuE0ELNS1_3repE0EEENS1_30default_config_static_selectorELNS0_4arch9wavefront6targetE1EEEvT1_,"axG",@progbits,_ZN7rocprim17ROCPRIM_400000_NS6detail17trampoline_kernelINS0_14default_configENS1_25transform_config_selectorINS0_10empty_typeELb1EEEZNS1_14transform_implILb1ES3_S6_PS5_S8_NS0_8identityIS5_EEEE10hipError_tT2_T3_mT4_P12ihipStream_tbEUlT_E_NS1_11comp_targetILNS1_3genE0ELNS1_11target_archE4294967295ELNS1_3gpuE0ELNS1_3repE0EEENS1_30default_config_static_selectorELNS0_4arch9wavefront6targetE1EEEvT1_,comdat
	.protected	_ZN7rocprim17ROCPRIM_400000_NS6detail17trampoline_kernelINS0_14default_configENS1_25transform_config_selectorINS0_10empty_typeELb1EEEZNS1_14transform_implILb1ES3_S6_PS5_S8_NS0_8identityIS5_EEEE10hipError_tT2_T3_mT4_P12ihipStream_tbEUlT_E_NS1_11comp_targetILNS1_3genE0ELNS1_11target_archE4294967295ELNS1_3gpuE0ELNS1_3repE0EEENS1_30default_config_static_selectorELNS0_4arch9wavefront6targetE1EEEvT1_ ; -- Begin function _ZN7rocprim17ROCPRIM_400000_NS6detail17trampoline_kernelINS0_14default_configENS1_25transform_config_selectorINS0_10empty_typeELb1EEEZNS1_14transform_implILb1ES3_S6_PS5_S8_NS0_8identityIS5_EEEE10hipError_tT2_T3_mT4_P12ihipStream_tbEUlT_E_NS1_11comp_targetILNS1_3genE0ELNS1_11target_archE4294967295ELNS1_3gpuE0ELNS1_3repE0EEENS1_30default_config_static_selectorELNS0_4arch9wavefront6targetE1EEEvT1_
	.globl	_ZN7rocprim17ROCPRIM_400000_NS6detail17trampoline_kernelINS0_14default_configENS1_25transform_config_selectorINS0_10empty_typeELb1EEEZNS1_14transform_implILb1ES3_S6_PS5_S8_NS0_8identityIS5_EEEE10hipError_tT2_T3_mT4_P12ihipStream_tbEUlT_E_NS1_11comp_targetILNS1_3genE0ELNS1_11target_archE4294967295ELNS1_3gpuE0ELNS1_3repE0EEENS1_30default_config_static_selectorELNS0_4arch9wavefront6targetE1EEEvT1_
	.p2align	8
	.type	_ZN7rocprim17ROCPRIM_400000_NS6detail17trampoline_kernelINS0_14default_configENS1_25transform_config_selectorINS0_10empty_typeELb1EEEZNS1_14transform_implILb1ES3_S6_PS5_S8_NS0_8identityIS5_EEEE10hipError_tT2_T3_mT4_P12ihipStream_tbEUlT_E_NS1_11comp_targetILNS1_3genE0ELNS1_11target_archE4294967295ELNS1_3gpuE0ELNS1_3repE0EEENS1_30default_config_static_selectorELNS0_4arch9wavefront6targetE1EEEvT1_,@function
_ZN7rocprim17ROCPRIM_400000_NS6detail17trampoline_kernelINS0_14default_configENS1_25transform_config_selectorINS0_10empty_typeELb1EEEZNS1_14transform_implILb1ES3_S6_PS5_S8_NS0_8identityIS5_EEEE10hipError_tT2_T3_mT4_P12ihipStream_tbEUlT_E_NS1_11comp_targetILNS1_3genE0ELNS1_11target_archE4294967295ELNS1_3gpuE0ELNS1_3repE0EEENS1_30default_config_static_selectorELNS0_4arch9wavefront6targetE1EEEvT1_: ; @_ZN7rocprim17ROCPRIM_400000_NS6detail17trampoline_kernelINS0_14default_configENS1_25transform_config_selectorINS0_10empty_typeELb1EEEZNS1_14transform_implILb1ES3_S6_PS5_S8_NS0_8identityIS5_EEEE10hipError_tT2_T3_mT4_P12ihipStream_tbEUlT_E_NS1_11comp_targetILNS1_3genE0ELNS1_11target_archE4294967295ELNS1_3gpuE0ELNS1_3repE0EEENS1_30default_config_static_selectorELNS0_4arch9wavefront6targetE1EEEvT1_
; %bb.0:
	.section	.rodata,"a",@progbits
	.p2align	6, 0x0
	.amdhsa_kernel _ZN7rocprim17ROCPRIM_400000_NS6detail17trampoline_kernelINS0_14default_configENS1_25transform_config_selectorINS0_10empty_typeELb1EEEZNS1_14transform_implILb1ES3_S6_PS5_S8_NS0_8identityIS5_EEEE10hipError_tT2_T3_mT4_P12ihipStream_tbEUlT_E_NS1_11comp_targetILNS1_3genE0ELNS1_11target_archE4294967295ELNS1_3gpuE0ELNS1_3repE0EEENS1_30default_config_static_selectorELNS0_4arch9wavefront6targetE1EEEvT1_
		.amdhsa_group_segment_fixed_size 0
		.amdhsa_private_segment_fixed_size 0
		.amdhsa_kernarg_size 40
		.amdhsa_user_sgpr_count 2
		.amdhsa_user_sgpr_dispatch_ptr 0
		.amdhsa_user_sgpr_queue_ptr 0
		.amdhsa_user_sgpr_kernarg_segment_ptr 1
		.amdhsa_user_sgpr_dispatch_id 0
		.amdhsa_user_sgpr_kernarg_preload_length 0
		.amdhsa_user_sgpr_kernarg_preload_offset 0
		.amdhsa_user_sgpr_private_segment_size 0
		.amdhsa_uses_dynamic_stack 0
		.amdhsa_enable_private_segment 0
		.amdhsa_system_sgpr_workgroup_id_x 1
		.amdhsa_system_sgpr_workgroup_id_y 0
		.amdhsa_system_sgpr_workgroup_id_z 0
		.amdhsa_system_sgpr_workgroup_info 0
		.amdhsa_system_vgpr_workitem_id 0
		.amdhsa_next_free_vgpr 1
		.amdhsa_next_free_sgpr 0
		.amdhsa_accum_offset 4
		.amdhsa_reserve_vcc 0
		.amdhsa_float_round_mode_32 0
		.amdhsa_float_round_mode_16_64 0
		.amdhsa_float_denorm_mode_32 3
		.amdhsa_float_denorm_mode_16_64 3
		.amdhsa_dx10_clamp 1
		.amdhsa_ieee_mode 1
		.amdhsa_fp16_overflow 0
		.amdhsa_tg_split 0
		.amdhsa_exception_fp_ieee_invalid_op 0
		.amdhsa_exception_fp_denorm_src 0
		.amdhsa_exception_fp_ieee_div_zero 0
		.amdhsa_exception_fp_ieee_overflow 0
		.amdhsa_exception_fp_ieee_underflow 0
		.amdhsa_exception_fp_ieee_inexact 0
		.amdhsa_exception_int_div_zero 0
	.end_amdhsa_kernel
	.section	.text._ZN7rocprim17ROCPRIM_400000_NS6detail17trampoline_kernelINS0_14default_configENS1_25transform_config_selectorINS0_10empty_typeELb1EEEZNS1_14transform_implILb1ES3_S6_PS5_S8_NS0_8identityIS5_EEEE10hipError_tT2_T3_mT4_P12ihipStream_tbEUlT_E_NS1_11comp_targetILNS1_3genE0ELNS1_11target_archE4294967295ELNS1_3gpuE0ELNS1_3repE0EEENS1_30default_config_static_selectorELNS0_4arch9wavefront6targetE1EEEvT1_,"axG",@progbits,_ZN7rocprim17ROCPRIM_400000_NS6detail17trampoline_kernelINS0_14default_configENS1_25transform_config_selectorINS0_10empty_typeELb1EEEZNS1_14transform_implILb1ES3_S6_PS5_S8_NS0_8identityIS5_EEEE10hipError_tT2_T3_mT4_P12ihipStream_tbEUlT_E_NS1_11comp_targetILNS1_3genE0ELNS1_11target_archE4294967295ELNS1_3gpuE0ELNS1_3repE0EEENS1_30default_config_static_selectorELNS0_4arch9wavefront6targetE1EEEvT1_,comdat
.Lfunc_end84:
	.size	_ZN7rocprim17ROCPRIM_400000_NS6detail17trampoline_kernelINS0_14default_configENS1_25transform_config_selectorINS0_10empty_typeELb1EEEZNS1_14transform_implILb1ES3_S6_PS5_S8_NS0_8identityIS5_EEEE10hipError_tT2_T3_mT4_P12ihipStream_tbEUlT_E_NS1_11comp_targetILNS1_3genE0ELNS1_11target_archE4294967295ELNS1_3gpuE0ELNS1_3repE0EEENS1_30default_config_static_selectorELNS0_4arch9wavefront6targetE1EEEvT1_, .Lfunc_end84-_ZN7rocprim17ROCPRIM_400000_NS6detail17trampoline_kernelINS0_14default_configENS1_25transform_config_selectorINS0_10empty_typeELb1EEEZNS1_14transform_implILb1ES3_S6_PS5_S8_NS0_8identityIS5_EEEE10hipError_tT2_T3_mT4_P12ihipStream_tbEUlT_E_NS1_11comp_targetILNS1_3genE0ELNS1_11target_archE4294967295ELNS1_3gpuE0ELNS1_3repE0EEENS1_30default_config_static_selectorELNS0_4arch9wavefront6targetE1EEEvT1_
                                        ; -- End function
	.section	.AMDGPU.csdata,"",@progbits
; Kernel info:
; codeLenInByte = 0
; NumSgprs: 6
; NumVgprs: 0
; NumAgprs: 0
; TotalNumVgprs: 0
; ScratchSize: 0
; MemoryBound: 0
; FloatMode: 240
; IeeeMode: 1
; LDSByteSize: 0 bytes/workgroup (compile time only)
; SGPRBlocks: 0
; VGPRBlocks: 0
; NumSGPRsForWavesPerEU: 6
; NumVGPRsForWavesPerEU: 1
; AccumOffset: 4
; Occupancy: 8
; WaveLimiterHint : 0
; COMPUTE_PGM_RSRC2:SCRATCH_EN: 0
; COMPUTE_PGM_RSRC2:USER_SGPR: 2
; COMPUTE_PGM_RSRC2:TRAP_HANDLER: 0
; COMPUTE_PGM_RSRC2:TGID_X_EN: 1
; COMPUTE_PGM_RSRC2:TGID_Y_EN: 0
; COMPUTE_PGM_RSRC2:TGID_Z_EN: 0
; COMPUTE_PGM_RSRC2:TIDIG_COMP_CNT: 0
; COMPUTE_PGM_RSRC3_GFX90A:ACCUM_OFFSET: 0
; COMPUTE_PGM_RSRC3_GFX90A:TG_SPLIT: 0
	.section	.text._ZN7rocprim17ROCPRIM_400000_NS6detail17trampoline_kernelINS0_14default_configENS1_25transform_config_selectorINS0_10empty_typeELb1EEEZNS1_14transform_implILb1ES3_S6_PS5_S8_NS0_8identityIS5_EEEE10hipError_tT2_T3_mT4_P12ihipStream_tbEUlT_E_NS1_11comp_targetILNS1_3genE10ELNS1_11target_archE1201ELNS1_3gpuE5ELNS1_3repE0EEENS1_30default_config_static_selectorELNS0_4arch9wavefront6targetE1EEEvT1_,"axG",@progbits,_ZN7rocprim17ROCPRIM_400000_NS6detail17trampoline_kernelINS0_14default_configENS1_25transform_config_selectorINS0_10empty_typeELb1EEEZNS1_14transform_implILb1ES3_S6_PS5_S8_NS0_8identityIS5_EEEE10hipError_tT2_T3_mT4_P12ihipStream_tbEUlT_E_NS1_11comp_targetILNS1_3genE10ELNS1_11target_archE1201ELNS1_3gpuE5ELNS1_3repE0EEENS1_30default_config_static_selectorELNS0_4arch9wavefront6targetE1EEEvT1_,comdat
	.protected	_ZN7rocprim17ROCPRIM_400000_NS6detail17trampoline_kernelINS0_14default_configENS1_25transform_config_selectorINS0_10empty_typeELb1EEEZNS1_14transform_implILb1ES3_S6_PS5_S8_NS0_8identityIS5_EEEE10hipError_tT2_T3_mT4_P12ihipStream_tbEUlT_E_NS1_11comp_targetILNS1_3genE10ELNS1_11target_archE1201ELNS1_3gpuE5ELNS1_3repE0EEENS1_30default_config_static_selectorELNS0_4arch9wavefront6targetE1EEEvT1_ ; -- Begin function _ZN7rocprim17ROCPRIM_400000_NS6detail17trampoline_kernelINS0_14default_configENS1_25transform_config_selectorINS0_10empty_typeELb1EEEZNS1_14transform_implILb1ES3_S6_PS5_S8_NS0_8identityIS5_EEEE10hipError_tT2_T3_mT4_P12ihipStream_tbEUlT_E_NS1_11comp_targetILNS1_3genE10ELNS1_11target_archE1201ELNS1_3gpuE5ELNS1_3repE0EEENS1_30default_config_static_selectorELNS0_4arch9wavefront6targetE1EEEvT1_
	.globl	_ZN7rocprim17ROCPRIM_400000_NS6detail17trampoline_kernelINS0_14default_configENS1_25transform_config_selectorINS0_10empty_typeELb1EEEZNS1_14transform_implILb1ES3_S6_PS5_S8_NS0_8identityIS5_EEEE10hipError_tT2_T3_mT4_P12ihipStream_tbEUlT_E_NS1_11comp_targetILNS1_3genE10ELNS1_11target_archE1201ELNS1_3gpuE5ELNS1_3repE0EEENS1_30default_config_static_selectorELNS0_4arch9wavefront6targetE1EEEvT1_
	.p2align	8
	.type	_ZN7rocprim17ROCPRIM_400000_NS6detail17trampoline_kernelINS0_14default_configENS1_25transform_config_selectorINS0_10empty_typeELb1EEEZNS1_14transform_implILb1ES3_S6_PS5_S8_NS0_8identityIS5_EEEE10hipError_tT2_T3_mT4_P12ihipStream_tbEUlT_E_NS1_11comp_targetILNS1_3genE10ELNS1_11target_archE1201ELNS1_3gpuE5ELNS1_3repE0EEENS1_30default_config_static_selectorELNS0_4arch9wavefront6targetE1EEEvT1_,@function
_ZN7rocprim17ROCPRIM_400000_NS6detail17trampoline_kernelINS0_14default_configENS1_25transform_config_selectorINS0_10empty_typeELb1EEEZNS1_14transform_implILb1ES3_S6_PS5_S8_NS0_8identityIS5_EEEE10hipError_tT2_T3_mT4_P12ihipStream_tbEUlT_E_NS1_11comp_targetILNS1_3genE10ELNS1_11target_archE1201ELNS1_3gpuE5ELNS1_3repE0EEENS1_30default_config_static_selectorELNS0_4arch9wavefront6targetE1EEEvT1_: ; @_ZN7rocprim17ROCPRIM_400000_NS6detail17trampoline_kernelINS0_14default_configENS1_25transform_config_selectorINS0_10empty_typeELb1EEEZNS1_14transform_implILb1ES3_S6_PS5_S8_NS0_8identityIS5_EEEE10hipError_tT2_T3_mT4_P12ihipStream_tbEUlT_E_NS1_11comp_targetILNS1_3genE10ELNS1_11target_archE1201ELNS1_3gpuE5ELNS1_3repE0EEENS1_30default_config_static_selectorELNS0_4arch9wavefront6targetE1EEEvT1_
; %bb.0:
	.section	.rodata,"a",@progbits
	.p2align	6, 0x0
	.amdhsa_kernel _ZN7rocprim17ROCPRIM_400000_NS6detail17trampoline_kernelINS0_14default_configENS1_25transform_config_selectorINS0_10empty_typeELb1EEEZNS1_14transform_implILb1ES3_S6_PS5_S8_NS0_8identityIS5_EEEE10hipError_tT2_T3_mT4_P12ihipStream_tbEUlT_E_NS1_11comp_targetILNS1_3genE10ELNS1_11target_archE1201ELNS1_3gpuE5ELNS1_3repE0EEENS1_30default_config_static_selectorELNS0_4arch9wavefront6targetE1EEEvT1_
		.amdhsa_group_segment_fixed_size 0
		.amdhsa_private_segment_fixed_size 0
		.amdhsa_kernarg_size 40
		.amdhsa_user_sgpr_count 2
		.amdhsa_user_sgpr_dispatch_ptr 0
		.amdhsa_user_sgpr_queue_ptr 0
		.amdhsa_user_sgpr_kernarg_segment_ptr 1
		.amdhsa_user_sgpr_dispatch_id 0
		.amdhsa_user_sgpr_kernarg_preload_length 0
		.amdhsa_user_sgpr_kernarg_preload_offset 0
		.amdhsa_user_sgpr_private_segment_size 0
		.amdhsa_uses_dynamic_stack 0
		.amdhsa_enable_private_segment 0
		.amdhsa_system_sgpr_workgroup_id_x 1
		.amdhsa_system_sgpr_workgroup_id_y 0
		.amdhsa_system_sgpr_workgroup_id_z 0
		.amdhsa_system_sgpr_workgroup_info 0
		.amdhsa_system_vgpr_workitem_id 0
		.amdhsa_next_free_vgpr 1
		.amdhsa_next_free_sgpr 0
		.amdhsa_accum_offset 4
		.amdhsa_reserve_vcc 0
		.amdhsa_float_round_mode_32 0
		.amdhsa_float_round_mode_16_64 0
		.amdhsa_float_denorm_mode_32 3
		.amdhsa_float_denorm_mode_16_64 3
		.amdhsa_dx10_clamp 1
		.amdhsa_ieee_mode 1
		.amdhsa_fp16_overflow 0
		.amdhsa_tg_split 0
		.amdhsa_exception_fp_ieee_invalid_op 0
		.amdhsa_exception_fp_denorm_src 0
		.amdhsa_exception_fp_ieee_div_zero 0
		.amdhsa_exception_fp_ieee_overflow 0
		.amdhsa_exception_fp_ieee_underflow 0
		.amdhsa_exception_fp_ieee_inexact 0
		.amdhsa_exception_int_div_zero 0
	.end_amdhsa_kernel
	.section	.text._ZN7rocprim17ROCPRIM_400000_NS6detail17trampoline_kernelINS0_14default_configENS1_25transform_config_selectorINS0_10empty_typeELb1EEEZNS1_14transform_implILb1ES3_S6_PS5_S8_NS0_8identityIS5_EEEE10hipError_tT2_T3_mT4_P12ihipStream_tbEUlT_E_NS1_11comp_targetILNS1_3genE10ELNS1_11target_archE1201ELNS1_3gpuE5ELNS1_3repE0EEENS1_30default_config_static_selectorELNS0_4arch9wavefront6targetE1EEEvT1_,"axG",@progbits,_ZN7rocprim17ROCPRIM_400000_NS6detail17trampoline_kernelINS0_14default_configENS1_25transform_config_selectorINS0_10empty_typeELb1EEEZNS1_14transform_implILb1ES3_S6_PS5_S8_NS0_8identityIS5_EEEE10hipError_tT2_T3_mT4_P12ihipStream_tbEUlT_E_NS1_11comp_targetILNS1_3genE10ELNS1_11target_archE1201ELNS1_3gpuE5ELNS1_3repE0EEENS1_30default_config_static_selectorELNS0_4arch9wavefront6targetE1EEEvT1_,comdat
.Lfunc_end85:
	.size	_ZN7rocprim17ROCPRIM_400000_NS6detail17trampoline_kernelINS0_14default_configENS1_25transform_config_selectorINS0_10empty_typeELb1EEEZNS1_14transform_implILb1ES3_S6_PS5_S8_NS0_8identityIS5_EEEE10hipError_tT2_T3_mT4_P12ihipStream_tbEUlT_E_NS1_11comp_targetILNS1_3genE10ELNS1_11target_archE1201ELNS1_3gpuE5ELNS1_3repE0EEENS1_30default_config_static_selectorELNS0_4arch9wavefront6targetE1EEEvT1_, .Lfunc_end85-_ZN7rocprim17ROCPRIM_400000_NS6detail17trampoline_kernelINS0_14default_configENS1_25transform_config_selectorINS0_10empty_typeELb1EEEZNS1_14transform_implILb1ES3_S6_PS5_S8_NS0_8identityIS5_EEEE10hipError_tT2_T3_mT4_P12ihipStream_tbEUlT_E_NS1_11comp_targetILNS1_3genE10ELNS1_11target_archE1201ELNS1_3gpuE5ELNS1_3repE0EEENS1_30default_config_static_selectorELNS0_4arch9wavefront6targetE1EEEvT1_
                                        ; -- End function
	.section	.AMDGPU.csdata,"",@progbits
; Kernel info:
; codeLenInByte = 0
; NumSgprs: 6
; NumVgprs: 0
; NumAgprs: 0
; TotalNumVgprs: 0
; ScratchSize: 0
; MemoryBound: 0
; FloatMode: 240
; IeeeMode: 1
; LDSByteSize: 0 bytes/workgroup (compile time only)
; SGPRBlocks: 0
; VGPRBlocks: 0
; NumSGPRsForWavesPerEU: 6
; NumVGPRsForWavesPerEU: 1
; AccumOffset: 4
; Occupancy: 8
; WaveLimiterHint : 0
; COMPUTE_PGM_RSRC2:SCRATCH_EN: 0
; COMPUTE_PGM_RSRC2:USER_SGPR: 2
; COMPUTE_PGM_RSRC2:TRAP_HANDLER: 0
; COMPUTE_PGM_RSRC2:TGID_X_EN: 1
; COMPUTE_PGM_RSRC2:TGID_Y_EN: 0
; COMPUTE_PGM_RSRC2:TGID_Z_EN: 0
; COMPUTE_PGM_RSRC2:TIDIG_COMP_CNT: 0
; COMPUTE_PGM_RSRC3_GFX90A:ACCUM_OFFSET: 0
; COMPUTE_PGM_RSRC3_GFX90A:TG_SPLIT: 0
	.section	.text._ZN7rocprim17ROCPRIM_400000_NS6detail17trampoline_kernelINS0_14default_configENS1_25transform_config_selectorINS0_10empty_typeELb1EEEZNS1_14transform_implILb1ES3_S6_PS5_S8_NS0_8identityIS5_EEEE10hipError_tT2_T3_mT4_P12ihipStream_tbEUlT_E_NS1_11comp_targetILNS1_3genE5ELNS1_11target_archE942ELNS1_3gpuE9ELNS1_3repE0EEENS1_30default_config_static_selectorELNS0_4arch9wavefront6targetE1EEEvT1_,"axG",@progbits,_ZN7rocprim17ROCPRIM_400000_NS6detail17trampoline_kernelINS0_14default_configENS1_25transform_config_selectorINS0_10empty_typeELb1EEEZNS1_14transform_implILb1ES3_S6_PS5_S8_NS0_8identityIS5_EEEE10hipError_tT2_T3_mT4_P12ihipStream_tbEUlT_E_NS1_11comp_targetILNS1_3genE5ELNS1_11target_archE942ELNS1_3gpuE9ELNS1_3repE0EEENS1_30default_config_static_selectorELNS0_4arch9wavefront6targetE1EEEvT1_,comdat
	.protected	_ZN7rocprim17ROCPRIM_400000_NS6detail17trampoline_kernelINS0_14default_configENS1_25transform_config_selectorINS0_10empty_typeELb1EEEZNS1_14transform_implILb1ES3_S6_PS5_S8_NS0_8identityIS5_EEEE10hipError_tT2_T3_mT4_P12ihipStream_tbEUlT_E_NS1_11comp_targetILNS1_3genE5ELNS1_11target_archE942ELNS1_3gpuE9ELNS1_3repE0EEENS1_30default_config_static_selectorELNS0_4arch9wavefront6targetE1EEEvT1_ ; -- Begin function _ZN7rocprim17ROCPRIM_400000_NS6detail17trampoline_kernelINS0_14default_configENS1_25transform_config_selectorINS0_10empty_typeELb1EEEZNS1_14transform_implILb1ES3_S6_PS5_S8_NS0_8identityIS5_EEEE10hipError_tT2_T3_mT4_P12ihipStream_tbEUlT_E_NS1_11comp_targetILNS1_3genE5ELNS1_11target_archE942ELNS1_3gpuE9ELNS1_3repE0EEENS1_30default_config_static_selectorELNS0_4arch9wavefront6targetE1EEEvT1_
	.globl	_ZN7rocprim17ROCPRIM_400000_NS6detail17trampoline_kernelINS0_14default_configENS1_25transform_config_selectorINS0_10empty_typeELb1EEEZNS1_14transform_implILb1ES3_S6_PS5_S8_NS0_8identityIS5_EEEE10hipError_tT2_T3_mT4_P12ihipStream_tbEUlT_E_NS1_11comp_targetILNS1_3genE5ELNS1_11target_archE942ELNS1_3gpuE9ELNS1_3repE0EEENS1_30default_config_static_selectorELNS0_4arch9wavefront6targetE1EEEvT1_
	.p2align	8
	.type	_ZN7rocprim17ROCPRIM_400000_NS6detail17trampoline_kernelINS0_14default_configENS1_25transform_config_selectorINS0_10empty_typeELb1EEEZNS1_14transform_implILb1ES3_S6_PS5_S8_NS0_8identityIS5_EEEE10hipError_tT2_T3_mT4_P12ihipStream_tbEUlT_E_NS1_11comp_targetILNS1_3genE5ELNS1_11target_archE942ELNS1_3gpuE9ELNS1_3repE0EEENS1_30default_config_static_selectorELNS0_4arch9wavefront6targetE1EEEvT1_,@function
_ZN7rocprim17ROCPRIM_400000_NS6detail17trampoline_kernelINS0_14default_configENS1_25transform_config_selectorINS0_10empty_typeELb1EEEZNS1_14transform_implILb1ES3_S6_PS5_S8_NS0_8identityIS5_EEEE10hipError_tT2_T3_mT4_P12ihipStream_tbEUlT_E_NS1_11comp_targetILNS1_3genE5ELNS1_11target_archE942ELNS1_3gpuE9ELNS1_3repE0EEENS1_30default_config_static_selectorELNS0_4arch9wavefront6targetE1EEEvT1_: ; @_ZN7rocprim17ROCPRIM_400000_NS6detail17trampoline_kernelINS0_14default_configENS1_25transform_config_selectorINS0_10empty_typeELb1EEEZNS1_14transform_implILb1ES3_S6_PS5_S8_NS0_8identityIS5_EEEE10hipError_tT2_T3_mT4_P12ihipStream_tbEUlT_E_NS1_11comp_targetILNS1_3genE5ELNS1_11target_archE942ELNS1_3gpuE9ELNS1_3repE0EEENS1_30default_config_static_selectorELNS0_4arch9wavefront6targetE1EEEvT1_
; %bb.0:
	s_endpgm
	.section	.rodata,"a",@progbits
	.p2align	6, 0x0
	.amdhsa_kernel _ZN7rocprim17ROCPRIM_400000_NS6detail17trampoline_kernelINS0_14default_configENS1_25transform_config_selectorINS0_10empty_typeELb1EEEZNS1_14transform_implILb1ES3_S6_PS5_S8_NS0_8identityIS5_EEEE10hipError_tT2_T3_mT4_P12ihipStream_tbEUlT_E_NS1_11comp_targetILNS1_3genE5ELNS1_11target_archE942ELNS1_3gpuE9ELNS1_3repE0EEENS1_30default_config_static_selectorELNS0_4arch9wavefront6targetE1EEEvT1_
		.amdhsa_group_segment_fixed_size 0
		.amdhsa_private_segment_fixed_size 0
		.amdhsa_kernarg_size 40
		.amdhsa_user_sgpr_count 2
		.amdhsa_user_sgpr_dispatch_ptr 0
		.amdhsa_user_sgpr_queue_ptr 0
		.amdhsa_user_sgpr_kernarg_segment_ptr 1
		.amdhsa_user_sgpr_dispatch_id 0
		.amdhsa_user_sgpr_kernarg_preload_length 0
		.amdhsa_user_sgpr_kernarg_preload_offset 0
		.amdhsa_user_sgpr_private_segment_size 0
		.amdhsa_uses_dynamic_stack 0
		.amdhsa_enable_private_segment 0
		.amdhsa_system_sgpr_workgroup_id_x 1
		.amdhsa_system_sgpr_workgroup_id_y 0
		.amdhsa_system_sgpr_workgroup_id_z 0
		.amdhsa_system_sgpr_workgroup_info 0
		.amdhsa_system_vgpr_workitem_id 0
		.amdhsa_next_free_vgpr 1
		.amdhsa_next_free_sgpr 0
		.amdhsa_accum_offset 4
		.amdhsa_reserve_vcc 0
		.amdhsa_float_round_mode_32 0
		.amdhsa_float_round_mode_16_64 0
		.amdhsa_float_denorm_mode_32 3
		.amdhsa_float_denorm_mode_16_64 3
		.amdhsa_dx10_clamp 1
		.amdhsa_ieee_mode 1
		.amdhsa_fp16_overflow 0
		.amdhsa_tg_split 0
		.amdhsa_exception_fp_ieee_invalid_op 0
		.amdhsa_exception_fp_denorm_src 0
		.amdhsa_exception_fp_ieee_div_zero 0
		.amdhsa_exception_fp_ieee_overflow 0
		.amdhsa_exception_fp_ieee_underflow 0
		.amdhsa_exception_fp_ieee_inexact 0
		.amdhsa_exception_int_div_zero 0
	.end_amdhsa_kernel
	.section	.text._ZN7rocprim17ROCPRIM_400000_NS6detail17trampoline_kernelINS0_14default_configENS1_25transform_config_selectorINS0_10empty_typeELb1EEEZNS1_14transform_implILb1ES3_S6_PS5_S8_NS0_8identityIS5_EEEE10hipError_tT2_T3_mT4_P12ihipStream_tbEUlT_E_NS1_11comp_targetILNS1_3genE5ELNS1_11target_archE942ELNS1_3gpuE9ELNS1_3repE0EEENS1_30default_config_static_selectorELNS0_4arch9wavefront6targetE1EEEvT1_,"axG",@progbits,_ZN7rocprim17ROCPRIM_400000_NS6detail17trampoline_kernelINS0_14default_configENS1_25transform_config_selectorINS0_10empty_typeELb1EEEZNS1_14transform_implILb1ES3_S6_PS5_S8_NS0_8identityIS5_EEEE10hipError_tT2_T3_mT4_P12ihipStream_tbEUlT_E_NS1_11comp_targetILNS1_3genE5ELNS1_11target_archE942ELNS1_3gpuE9ELNS1_3repE0EEENS1_30default_config_static_selectorELNS0_4arch9wavefront6targetE1EEEvT1_,comdat
.Lfunc_end86:
	.size	_ZN7rocprim17ROCPRIM_400000_NS6detail17trampoline_kernelINS0_14default_configENS1_25transform_config_selectorINS0_10empty_typeELb1EEEZNS1_14transform_implILb1ES3_S6_PS5_S8_NS0_8identityIS5_EEEE10hipError_tT2_T3_mT4_P12ihipStream_tbEUlT_E_NS1_11comp_targetILNS1_3genE5ELNS1_11target_archE942ELNS1_3gpuE9ELNS1_3repE0EEENS1_30default_config_static_selectorELNS0_4arch9wavefront6targetE1EEEvT1_, .Lfunc_end86-_ZN7rocprim17ROCPRIM_400000_NS6detail17trampoline_kernelINS0_14default_configENS1_25transform_config_selectorINS0_10empty_typeELb1EEEZNS1_14transform_implILb1ES3_S6_PS5_S8_NS0_8identityIS5_EEEE10hipError_tT2_T3_mT4_P12ihipStream_tbEUlT_E_NS1_11comp_targetILNS1_3genE5ELNS1_11target_archE942ELNS1_3gpuE9ELNS1_3repE0EEENS1_30default_config_static_selectorELNS0_4arch9wavefront6targetE1EEEvT1_
                                        ; -- End function
	.section	.AMDGPU.csdata,"",@progbits
; Kernel info:
; codeLenInByte = 4
; NumSgprs: 6
; NumVgprs: 0
; NumAgprs: 0
; TotalNumVgprs: 0
; ScratchSize: 0
; MemoryBound: 0
; FloatMode: 240
; IeeeMode: 1
; LDSByteSize: 0 bytes/workgroup (compile time only)
; SGPRBlocks: 0
; VGPRBlocks: 0
; NumSGPRsForWavesPerEU: 6
; NumVGPRsForWavesPerEU: 1
; AccumOffset: 4
; Occupancy: 8
; WaveLimiterHint : 0
; COMPUTE_PGM_RSRC2:SCRATCH_EN: 0
; COMPUTE_PGM_RSRC2:USER_SGPR: 2
; COMPUTE_PGM_RSRC2:TRAP_HANDLER: 0
; COMPUTE_PGM_RSRC2:TGID_X_EN: 1
; COMPUTE_PGM_RSRC2:TGID_Y_EN: 0
; COMPUTE_PGM_RSRC2:TGID_Z_EN: 0
; COMPUTE_PGM_RSRC2:TIDIG_COMP_CNT: 0
; COMPUTE_PGM_RSRC3_GFX90A:ACCUM_OFFSET: 0
; COMPUTE_PGM_RSRC3_GFX90A:TG_SPLIT: 0
	.section	.text._ZN7rocprim17ROCPRIM_400000_NS6detail17trampoline_kernelINS0_14default_configENS1_25transform_config_selectorINS0_10empty_typeELb1EEEZNS1_14transform_implILb1ES3_S6_PS5_S8_NS0_8identityIS5_EEEE10hipError_tT2_T3_mT4_P12ihipStream_tbEUlT_E_NS1_11comp_targetILNS1_3genE4ELNS1_11target_archE910ELNS1_3gpuE8ELNS1_3repE0EEENS1_30default_config_static_selectorELNS0_4arch9wavefront6targetE1EEEvT1_,"axG",@progbits,_ZN7rocprim17ROCPRIM_400000_NS6detail17trampoline_kernelINS0_14default_configENS1_25transform_config_selectorINS0_10empty_typeELb1EEEZNS1_14transform_implILb1ES3_S6_PS5_S8_NS0_8identityIS5_EEEE10hipError_tT2_T3_mT4_P12ihipStream_tbEUlT_E_NS1_11comp_targetILNS1_3genE4ELNS1_11target_archE910ELNS1_3gpuE8ELNS1_3repE0EEENS1_30default_config_static_selectorELNS0_4arch9wavefront6targetE1EEEvT1_,comdat
	.protected	_ZN7rocprim17ROCPRIM_400000_NS6detail17trampoline_kernelINS0_14default_configENS1_25transform_config_selectorINS0_10empty_typeELb1EEEZNS1_14transform_implILb1ES3_S6_PS5_S8_NS0_8identityIS5_EEEE10hipError_tT2_T3_mT4_P12ihipStream_tbEUlT_E_NS1_11comp_targetILNS1_3genE4ELNS1_11target_archE910ELNS1_3gpuE8ELNS1_3repE0EEENS1_30default_config_static_selectorELNS0_4arch9wavefront6targetE1EEEvT1_ ; -- Begin function _ZN7rocprim17ROCPRIM_400000_NS6detail17trampoline_kernelINS0_14default_configENS1_25transform_config_selectorINS0_10empty_typeELb1EEEZNS1_14transform_implILb1ES3_S6_PS5_S8_NS0_8identityIS5_EEEE10hipError_tT2_T3_mT4_P12ihipStream_tbEUlT_E_NS1_11comp_targetILNS1_3genE4ELNS1_11target_archE910ELNS1_3gpuE8ELNS1_3repE0EEENS1_30default_config_static_selectorELNS0_4arch9wavefront6targetE1EEEvT1_
	.globl	_ZN7rocprim17ROCPRIM_400000_NS6detail17trampoline_kernelINS0_14default_configENS1_25transform_config_selectorINS0_10empty_typeELb1EEEZNS1_14transform_implILb1ES3_S6_PS5_S8_NS0_8identityIS5_EEEE10hipError_tT2_T3_mT4_P12ihipStream_tbEUlT_E_NS1_11comp_targetILNS1_3genE4ELNS1_11target_archE910ELNS1_3gpuE8ELNS1_3repE0EEENS1_30default_config_static_selectorELNS0_4arch9wavefront6targetE1EEEvT1_
	.p2align	8
	.type	_ZN7rocprim17ROCPRIM_400000_NS6detail17trampoline_kernelINS0_14default_configENS1_25transform_config_selectorINS0_10empty_typeELb1EEEZNS1_14transform_implILb1ES3_S6_PS5_S8_NS0_8identityIS5_EEEE10hipError_tT2_T3_mT4_P12ihipStream_tbEUlT_E_NS1_11comp_targetILNS1_3genE4ELNS1_11target_archE910ELNS1_3gpuE8ELNS1_3repE0EEENS1_30default_config_static_selectorELNS0_4arch9wavefront6targetE1EEEvT1_,@function
_ZN7rocprim17ROCPRIM_400000_NS6detail17trampoline_kernelINS0_14default_configENS1_25transform_config_selectorINS0_10empty_typeELb1EEEZNS1_14transform_implILb1ES3_S6_PS5_S8_NS0_8identityIS5_EEEE10hipError_tT2_T3_mT4_P12ihipStream_tbEUlT_E_NS1_11comp_targetILNS1_3genE4ELNS1_11target_archE910ELNS1_3gpuE8ELNS1_3repE0EEENS1_30default_config_static_selectorELNS0_4arch9wavefront6targetE1EEEvT1_: ; @_ZN7rocprim17ROCPRIM_400000_NS6detail17trampoline_kernelINS0_14default_configENS1_25transform_config_selectorINS0_10empty_typeELb1EEEZNS1_14transform_implILb1ES3_S6_PS5_S8_NS0_8identityIS5_EEEE10hipError_tT2_T3_mT4_P12ihipStream_tbEUlT_E_NS1_11comp_targetILNS1_3genE4ELNS1_11target_archE910ELNS1_3gpuE8ELNS1_3repE0EEENS1_30default_config_static_selectorELNS0_4arch9wavefront6targetE1EEEvT1_
; %bb.0:
	.section	.rodata,"a",@progbits
	.p2align	6, 0x0
	.amdhsa_kernel _ZN7rocprim17ROCPRIM_400000_NS6detail17trampoline_kernelINS0_14default_configENS1_25transform_config_selectorINS0_10empty_typeELb1EEEZNS1_14transform_implILb1ES3_S6_PS5_S8_NS0_8identityIS5_EEEE10hipError_tT2_T3_mT4_P12ihipStream_tbEUlT_E_NS1_11comp_targetILNS1_3genE4ELNS1_11target_archE910ELNS1_3gpuE8ELNS1_3repE0EEENS1_30default_config_static_selectorELNS0_4arch9wavefront6targetE1EEEvT1_
		.amdhsa_group_segment_fixed_size 0
		.amdhsa_private_segment_fixed_size 0
		.amdhsa_kernarg_size 40
		.amdhsa_user_sgpr_count 2
		.amdhsa_user_sgpr_dispatch_ptr 0
		.amdhsa_user_sgpr_queue_ptr 0
		.amdhsa_user_sgpr_kernarg_segment_ptr 1
		.amdhsa_user_sgpr_dispatch_id 0
		.amdhsa_user_sgpr_kernarg_preload_length 0
		.amdhsa_user_sgpr_kernarg_preload_offset 0
		.amdhsa_user_sgpr_private_segment_size 0
		.amdhsa_uses_dynamic_stack 0
		.amdhsa_enable_private_segment 0
		.amdhsa_system_sgpr_workgroup_id_x 1
		.amdhsa_system_sgpr_workgroup_id_y 0
		.amdhsa_system_sgpr_workgroup_id_z 0
		.amdhsa_system_sgpr_workgroup_info 0
		.amdhsa_system_vgpr_workitem_id 0
		.amdhsa_next_free_vgpr 1
		.amdhsa_next_free_sgpr 0
		.amdhsa_accum_offset 4
		.amdhsa_reserve_vcc 0
		.amdhsa_float_round_mode_32 0
		.amdhsa_float_round_mode_16_64 0
		.amdhsa_float_denorm_mode_32 3
		.amdhsa_float_denorm_mode_16_64 3
		.amdhsa_dx10_clamp 1
		.amdhsa_ieee_mode 1
		.amdhsa_fp16_overflow 0
		.amdhsa_tg_split 0
		.amdhsa_exception_fp_ieee_invalid_op 0
		.amdhsa_exception_fp_denorm_src 0
		.amdhsa_exception_fp_ieee_div_zero 0
		.amdhsa_exception_fp_ieee_overflow 0
		.amdhsa_exception_fp_ieee_underflow 0
		.amdhsa_exception_fp_ieee_inexact 0
		.amdhsa_exception_int_div_zero 0
	.end_amdhsa_kernel
	.section	.text._ZN7rocprim17ROCPRIM_400000_NS6detail17trampoline_kernelINS0_14default_configENS1_25transform_config_selectorINS0_10empty_typeELb1EEEZNS1_14transform_implILb1ES3_S6_PS5_S8_NS0_8identityIS5_EEEE10hipError_tT2_T3_mT4_P12ihipStream_tbEUlT_E_NS1_11comp_targetILNS1_3genE4ELNS1_11target_archE910ELNS1_3gpuE8ELNS1_3repE0EEENS1_30default_config_static_selectorELNS0_4arch9wavefront6targetE1EEEvT1_,"axG",@progbits,_ZN7rocprim17ROCPRIM_400000_NS6detail17trampoline_kernelINS0_14default_configENS1_25transform_config_selectorINS0_10empty_typeELb1EEEZNS1_14transform_implILb1ES3_S6_PS5_S8_NS0_8identityIS5_EEEE10hipError_tT2_T3_mT4_P12ihipStream_tbEUlT_E_NS1_11comp_targetILNS1_3genE4ELNS1_11target_archE910ELNS1_3gpuE8ELNS1_3repE0EEENS1_30default_config_static_selectorELNS0_4arch9wavefront6targetE1EEEvT1_,comdat
.Lfunc_end87:
	.size	_ZN7rocprim17ROCPRIM_400000_NS6detail17trampoline_kernelINS0_14default_configENS1_25transform_config_selectorINS0_10empty_typeELb1EEEZNS1_14transform_implILb1ES3_S6_PS5_S8_NS0_8identityIS5_EEEE10hipError_tT2_T3_mT4_P12ihipStream_tbEUlT_E_NS1_11comp_targetILNS1_3genE4ELNS1_11target_archE910ELNS1_3gpuE8ELNS1_3repE0EEENS1_30default_config_static_selectorELNS0_4arch9wavefront6targetE1EEEvT1_, .Lfunc_end87-_ZN7rocprim17ROCPRIM_400000_NS6detail17trampoline_kernelINS0_14default_configENS1_25transform_config_selectorINS0_10empty_typeELb1EEEZNS1_14transform_implILb1ES3_S6_PS5_S8_NS0_8identityIS5_EEEE10hipError_tT2_T3_mT4_P12ihipStream_tbEUlT_E_NS1_11comp_targetILNS1_3genE4ELNS1_11target_archE910ELNS1_3gpuE8ELNS1_3repE0EEENS1_30default_config_static_selectorELNS0_4arch9wavefront6targetE1EEEvT1_
                                        ; -- End function
	.section	.AMDGPU.csdata,"",@progbits
; Kernel info:
; codeLenInByte = 0
; NumSgprs: 6
; NumVgprs: 0
; NumAgprs: 0
; TotalNumVgprs: 0
; ScratchSize: 0
; MemoryBound: 0
; FloatMode: 240
; IeeeMode: 1
; LDSByteSize: 0 bytes/workgroup (compile time only)
; SGPRBlocks: 0
; VGPRBlocks: 0
; NumSGPRsForWavesPerEU: 6
; NumVGPRsForWavesPerEU: 1
; AccumOffset: 4
; Occupancy: 8
; WaveLimiterHint : 0
; COMPUTE_PGM_RSRC2:SCRATCH_EN: 0
; COMPUTE_PGM_RSRC2:USER_SGPR: 2
; COMPUTE_PGM_RSRC2:TRAP_HANDLER: 0
; COMPUTE_PGM_RSRC2:TGID_X_EN: 1
; COMPUTE_PGM_RSRC2:TGID_Y_EN: 0
; COMPUTE_PGM_RSRC2:TGID_Z_EN: 0
; COMPUTE_PGM_RSRC2:TIDIG_COMP_CNT: 0
; COMPUTE_PGM_RSRC3_GFX90A:ACCUM_OFFSET: 0
; COMPUTE_PGM_RSRC3_GFX90A:TG_SPLIT: 0
	.section	.text._ZN7rocprim17ROCPRIM_400000_NS6detail17trampoline_kernelINS0_14default_configENS1_25transform_config_selectorINS0_10empty_typeELb1EEEZNS1_14transform_implILb1ES3_S6_PS5_S8_NS0_8identityIS5_EEEE10hipError_tT2_T3_mT4_P12ihipStream_tbEUlT_E_NS1_11comp_targetILNS1_3genE3ELNS1_11target_archE908ELNS1_3gpuE7ELNS1_3repE0EEENS1_30default_config_static_selectorELNS0_4arch9wavefront6targetE1EEEvT1_,"axG",@progbits,_ZN7rocprim17ROCPRIM_400000_NS6detail17trampoline_kernelINS0_14default_configENS1_25transform_config_selectorINS0_10empty_typeELb1EEEZNS1_14transform_implILb1ES3_S6_PS5_S8_NS0_8identityIS5_EEEE10hipError_tT2_T3_mT4_P12ihipStream_tbEUlT_E_NS1_11comp_targetILNS1_3genE3ELNS1_11target_archE908ELNS1_3gpuE7ELNS1_3repE0EEENS1_30default_config_static_selectorELNS0_4arch9wavefront6targetE1EEEvT1_,comdat
	.protected	_ZN7rocprim17ROCPRIM_400000_NS6detail17trampoline_kernelINS0_14default_configENS1_25transform_config_selectorINS0_10empty_typeELb1EEEZNS1_14transform_implILb1ES3_S6_PS5_S8_NS0_8identityIS5_EEEE10hipError_tT2_T3_mT4_P12ihipStream_tbEUlT_E_NS1_11comp_targetILNS1_3genE3ELNS1_11target_archE908ELNS1_3gpuE7ELNS1_3repE0EEENS1_30default_config_static_selectorELNS0_4arch9wavefront6targetE1EEEvT1_ ; -- Begin function _ZN7rocprim17ROCPRIM_400000_NS6detail17trampoline_kernelINS0_14default_configENS1_25transform_config_selectorINS0_10empty_typeELb1EEEZNS1_14transform_implILb1ES3_S6_PS5_S8_NS0_8identityIS5_EEEE10hipError_tT2_T3_mT4_P12ihipStream_tbEUlT_E_NS1_11comp_targetILNS1_3genE3ELNS1_11target_archE908ELNS1_3gpuE7ELNS1_3repE0EEENS1_30default_config_static_selectorELNS0_4arch9wavefront6targetE1EEEvT1_
	.globl	_ZN7rocprim17ROCPRIM_400000_NS6detail17trampoline_kernelINS0_14default_configENS1_25transform_config_selectorINS0_10empty_typeELb1EEEZNS1_14transform_implILb1ES3_S6_PS5_S8_NS0_8identityIS5_EEEE10hipError_tT2_T3_mT4_P12ihipStream_tbEUlT_E_NS1_11comp_targetILNS1_3genE3ELNS1_11target_archE908ELNS1_3gpuE7ELNS1_3repE0EEENS1_30default_config_static_selectorELNS0_4arch9wavefront6targetE1EEEvT1_
	.p2align	8
	.type	_ZN7rocprim17ROCPRIM_400000_NS6detail17trampoline_kernelINS0_14default_configENS1_25transform_config_selectorINS0_10empty_typeELb1EEEZNS1_14transform_implILb1ES3_S6_PS5_S8_NS0_8identityIS5_EEEE10hipError_tT2_T3_mT4_P12ihipStream_tbEUlT_E_NS1_11comp_targetILNS1_3genE3ELNS1_11target_archE908ELNS1_3gpuE7ELNS1_3repE0EEENS1_30default_config_static_selectorELNS0_4arch9wavefront6targetE1EEEvT1_,@function
_ZN7rocprim17ROCPRIM_400000_NS6detail17trampoline_kernelINS0_14default_configENS1_25transform_config_selectorINS0_10empty_typeELb1EEEZNS1_14transform_implILb1ES3_S6_PS5_S8_NS0_8identityIS5_EEEE10hipError_tT2_T3_mT4_P12ihipStream_tbEUlT_E_NS1_11comp_targetILNS1_3genE3ELNS1_11target_archE908ELNS1_3gpuE7ELNS1_3repE0EEENS1_30default_config_static_selectorELNS0_4arch9wavefront6targetE1EEEvT1_: ; @_ZN7rocprim17ROCPRIM_400000_NS6detail17trampoline_kernelINS0_14default_configENS1_25transform_config_selectorINS0_10empty_typeELb1EEEZNS1_14transform_implILb1ES3_S6_PS5_S8_NS0_8identityIS5_EEEE10hipError_tT2_T3_mT4_P12ihipStream_tbEUlT_E_NS1_11comp_targetILNS1_3genE3ELNS1_11target_archE908ELNS1_3gpuE7ELNS1_3repE0EEENS1_30default_config_static_selectorELNS0_4arch9wavefront6targetE1EEEvT1_
; %bb.0:
	.section	.rodata,"a",@progbits
	.p2align	6, 0x0
	.amdhsa_kernel _ZN7rocprim17ROCPRIM_400000_NS6detail17trampoline_kernelINS0_14default_configENS1_25transform_config_selectorINS0_10empty_typeELb1EEEZNS1_14transform_implILb1ES3_S6_PS5_S8_NS0_8identityIS5_EEEE10hipError_tT2_T3_mT4_P12ihipStream_tbEUlT_E_NS1_11comp_targetILNS1_3genE3ELNS1_11target_archE908ELNS1_3gpuE7ELNS1_3repE0EEENS1_30default_config_static_selectorELNS0_4arch9wavefront6targetE1EEEvT1_
		.amdhsa_group_segment_fixed_size 0
		.amdhsa_private_segment_fixed_size 0
		.amdhsa_kernarg_size 40
		.amdhsa_user_sgpr_count 2
		.amdhsa_user_sgpr_dispatch_ptr 0
		.amdhsa_user_sgpr_queue_ptr 0
		.amdhsa_user_sgpr_kernarg_segment_ptr 1
		.amdhsa_user_sgpr_dispatch_id 0
		.amdhsa_user_sgpr_kernarg_preload_length 0
		.amdhsa_user_sgpr_kernarg_preload_offset 0
		.amdhsa_user_sgpr_private_segment_size 0
		.amdhsa_uses_dynamic_stack 0
		.amdhsa_enable_private_segment 0
		.amdhsa_system_sgpr_workgroup_id_x 1
		.amdhsa_system_sgpr_workgroup_id_y 0
		.amdhsa_system_sgpr_workgroup_id_z 0
		.amdhsa_system_sgpr_workgroup_info 0
		.amdhsa_system_vgpr_workitem_id 0
		.amdhsa_next_free_vgpr 1
		.amdhsa_next_free_sgpr 0
		.amdhsa_accum_offset 4
		.amdhsa_reserve_vcc 0
		.amdhsa_float_round_mode_32 0
		.amdhsa_float_round_mode_16_64 0
		.amdhsa_float_denorm_mode_32 3
		.amdhsa_float_denorm_mode_16_64 3
		.amdhsa_dx10_clamp 1
		.amdhsa_ieee_mode 1
		.amdhsa_fp16_overflow 0
		.amdhsa_tg_split 0
		.amdhsa_exception_fp_ieee_invalid_op 0
		.amdhsa_exception_fp_denorm_src 0
		.amdhsa_exception_fp_ieee_div_zero 0
		.amdhsa_exception_fp_ieee_overflow 0
		.amdhsa_exception_fp_ieee_underflow 0
		.amdhsa_exception_fp_ieee_inexact 0
		.amdhsa_exception_int_div_zero 0
	.end_amdhsa_kernel
	.section	.text._ZN7rocprim17ROCPRIM_400000_NS6detail17trampoline_kernelINS0_14default_configENS1_25transform_config_selectorINS0_10empty_typeELb1EEEZNS1_14transform_implILb1ES3_S6_PS5_S8_NS0_8identityIS5_EEEE10hipError_tT2_T3_mT4_P12ihipStream_tbEUlT_E_NS1_11comp_targetILNS1_3genE3ELNS1_11target_archE908ELNS1_3gpuE7ELNS1_3repE0EEENS1_30default_config_static_selectorELNS0_4arch9wavefront6targetE1EEEvT1_,"axG",@progbits,_ZN7rocprim17ROCPRIM_400000_NS6detail17trampoline_kernelINS0_14default_configENS1_25transform_config_selectorINS0_10empty_typeELb1EEEZNS1_14transform_implILb1ES3_S6_PS5_S8_NS0_8identityIS5_EEEE10hipError_tT2_T3_mT4_P12ihipStream_tbEUlT_E_NS1_11comp_targetILNS1_3genE3ELNS1_11target_archE908ELNS1_3gpuE7ELNS1_3repE0EEENS1_30default_config_static_selectorELNS0_4arch9wavefront6targetE1EEEvT1_,comdat
.Lfunc_end88:
	.size	_ZN7rocprim17ROCPRIM_400000_NS6detail17trampoline_kernelINS0_14default_configENS1_25transform_config_selectorINS0_10empty_typeELb1EEEZNS1_14transform_implILb1ES3_S6_PS5_S8_NS0_8identityIS5_EEEE10hipError_tT2_T3_mT4_P12ihipStream_tbEUlT_E_NS1_11comp_targetILNS1_3genE3ELNS1_11target_archE908ELNS1_3gpuE7ELNS1_3repE0EEENS1_30default_config_static_selectorELNS0_4arch9wavefront6targetE1EEEvT1_, .Lfunc_end88-_ZN7rocprim17ROCPRIM_400000_NS6detail17trampoline_kernelINS0_14default_configENS1_25transform_config_selectorINS0_10empty_typeELb1EEEZNS1_14transform_implILb1ES3_S6_PS5_S8_NS0_8identityIS5_EEEE10hipError_tT2_T3_mT4_P12ihipStream_tbEUlT_E_NS1_11comp_targetILNS1_3genE3ELNS1_11target_archE908ELNS1_3gpuE7ELNS1_3repE0EEENS1_30default_config_static_selectorELNS0_4arch9wavefront6targetE1EEEvT1_
                                        ; -- End function
	.section	.AMDGPU.csdata,"",@progbits
; Kernel info:
; codeLenInByte = 0
; NumSgprs: 6
; NumVgprs: 0
; NumAgprs: 0
; TotalNumVgprs: 0
; ScratchSize: 0
; MemoryBound: 0
; FloatMode: 240
; IeeeMode: 1
; LDSByteSize: 0 bytes/workgroup (compile time only)
; SGPRBlocks: 0
; VGPRBlocks: 0
; NumSGPRsForWavesPerEU: 6
; NumVGPRsForWavesPerEU: 1
; AccumOffset: 4
; Occupancy: 8
; WaveLimiterHint : 0
; COMPUTE_PGM_RSRC2:SCRATCH_EN: 0
; COMPUTE_PGM_RSRC2:USER_SGPR: 2
; COMPUTE_PGM_RSRC2:TRAP_HANDLER: 0
; COMPUTE_PGM_RSRC2:TGID_X_EN: 1
; COMPUTE_PGM_RSRC2:TGID_Y_EN: 0
; COMPUTE_PGM_RSRC2:TGID_Z_EN: 0
; COMPUTE_PGM_RSRC2:TIDIG_COMP_CNT: 0
; COMPUTE_PGM_RSRC3_GFX90A:ACCUM_OFFSET: 0
; COMPUTE_PGM_RSRC3_GFX90A:TG_SPLIT: 0
	.section	.text._ZN7rocprim17ROCPRIM_400000_NS6detail17trampoline_kernelINS0_14default_configENS1_25transform_config_selectorINS0_10empty_typeELb1EEEZNS1_14transform_implILb1ES3_S6_PS5_S8_NS0_8identityIS5_EEEE10hipError_tT2_T3_mT4_P12ihipStream_tbEUlT_E_NS1_11comp_targetILNS1_3genE2ELNS1_11target_archE906ELNS1_3gpuE6ELNS1_3repE0EEENS1_30default_config_static_selectorELNS0_4arch9wavefront6targetE1EEEvT1_,"axG",@progbits,_ZN7rocprim17ROCPRIM_400000_NS6detail17trampoline_kernelINS0_14default_configENS1_25transform_config_selectorINS0_10empty_typeELb1EEEZNS1_14transform_implILb1ES3_S6_PS5_S8_NS0_8identityIS5_EEEE10hipError_tT2_T3_mT4_P12ihipStream_tbEUlT_E_NS1_11comp_targetILNS1_3genE2ELNS1_11target_archE906ELNS1_3gpuE6ELNS1_3repE0EEENS1_30default_config_static_selectorELNS0_4arch9wavefront6targetE1EEEvT1_,comdat
	.protected	_ZN7rocprim17ROCPRIM_400000_NS6detail17trampoline_kernelINS0_14default_configENS1_25transform_config_selectorINS0_10empty_typeELb1EEEZNS1_14transform_implILb1ES3_S6_PS5_S8_NS0_8identityIS5_EEEE10hipError_tT2_T3_mT4_P12ihipStream_tbEUlT_E_NS1_11comp_targetILNS1_3genE2ELNS1_11target_archE906ELNS1_3gpuE6ELNS1_3repE0EEENS1_30default_config_static_selectorELNS0_4arch9wavefront6targetE1EEEvT1_ ; -- Begin function _ZN7rocprim17ROCPRIM_400000_NS6detail17trampoline_kernelINS0_14default_configENS1_25transform_config_selectorINS0_10empty_typeELb1EEEZNS1_14transform_implILb1ES3_S6_PS5_S8_NS0_8identityIS5_EEEE10hipError_tT2_T3_mT4_P12ihipStream_tbEUlT_E_NS1_11comp_targetILNS1_3genE2ELNS1_11target_archE906ELNS1_3gpuE6ELNS1_3repE0EEENS1_30default_config_static_selectorELNS0_4arch9wavefront6targetE1EEEvT1_
	.globl	_ZN7rocprim17ROCPRIM_400000_NS6detail17trampoline_kernelINS0_14default_configENS1_25transform_config_selectorINS0_10empty_typeELb1EEEZNS1_14transform_implILb1ES3_S6_PS5_S8_NS0_8identityIS5_EEEE10hipError_tT2_T3_mT4_P12ihipStream_tbEUlT_E_NS1_11comp_targetILNS1_3genE2ELNS1_11target_archE906ELNS1_3gpuE6ELNS1_3repE0EEENS1_30default_config_static_selectorELNS0_4arch9wavefront6targetE1EEEvT1_
	.p2align	8
	.type	_ZN7rocprim17ROCPRIM_400000_NS6detail17trampoline_kernelINS0_14default_configENS1_25transform_config_selectorINS0_10empty_typeELb1EEEZNS1_14transform_implILb1ES3_S6_PS5_S8_NS0_8identityIS5_EEEE10hipError_tT2_T3_mT4_P12ihipStream_tbEUlT_E_NS1_11comp_targetILNS1_3genE2ELNS1_11target_archE906ELNS1_3gpuE6ELNS1_3repE0EEENS1_30default_config_static_selectorELNS0_4arch9wavefront6targetE1EEEvT1_,@function
_ZN7rocprim17ROCPRIM_400000_NS6detail17trampoline_kernelINS0_14default_configENS1_25transform_config_selectorINS0_10empty_typeELb1EEEZNS1_14transform_implILb1ES3_S6_PS5_S8_NS0_8identityIS5_EEEE10hipError_tT2_T3_mT4_P12ihipStream_tbEUlT_E_NS1_11comp_targetILNS1_3genE2ELNS1_11target_archE906ELNS1_3gpuE6ELNS1_3repE0EEENS1_30default_config_static_selectorELNS0_4arch9wavefront6targetE1EEEvT1_: ; @_ZN7rocprim17ROCPRIM_400000_NS6detail17trampoline_kernelINS0_14default_configENS1_25transform_config_selectorINS0_10empty_typeELb1EEEZNS1_14transform_implILb1ES3_S6_PS5_S8_NS0_8identityIS5_EEEE10hipError_tT2_T3_mT4_P12ihipStream_tbEUlT_E_NS1_11comp_targetILNS1_3genE2ELNS1_11target_archE906ELNS1_3gpuE6ELNS1_3repE0EEENS1_30default_config_static_selectorELNS0_4arch9wavefront6targetE1EEEvT1_
; %bb.0:
	.section	.rodata,"a",@progbits
	.p2align	6, 0x0
	.amdhsa_kernel _ZN7rocprim17ROCPRIM_400000_NS6detail17trampoline_kernelINS0_14default_configENS1_25transform_config_selectorINS0_10empty_typeELb1EEEZNS1_14transform_implILb1ES3_S6_PS5_S8_NS0_8identityIS5_EEEE10hipError_tT2_T3_mT4_P12ihipStream_tbEUlT_E_NS1_11comp_targetILNS1_3genE2ELNS1_11target_archE906ELNS1_3gpuE6ELNS1_3repE0EEENS1_30default_config_static_selectorELNS0_4arch9wavefront6targetE1EEEvT1_
		.amdhsa_group_segment_fixed_size 0
		.amdhsa_private_segment_fixed_size 0
		.amdhsa_kernarg_size 40
		.amdhsa_user_sgpr_count 2
		.amdhsa_user_sgpr_dispatch_ptr 0
		.amdhsa_user_sgpr_queue_ptr 0
		.amdhsa_user_sgpr_kernarg_segment_ptr 1
		.amdhsa_user_sgpr_dispatch_id 0
		.amdhsa_user_sgpr_kernarg_preload_length 0
		.amdhsa_user_sgpr_kernarg_preload_offset 0
		.amdhsa_user_sgpr_private_segment_size 0
		.amdhsa_uses_dynamic_stack 0
		.amdhsa_enable_private_segment 0
		.amdhsa_system_sgpr_workgroup_id_x 1
		.amdhsa_system_sgpr_workgroup_id_y 0
		.amdhsa_system_sgpr_workgroup_id_z 0
		.amdhsa_system_sgpr_workgroup_info 0
		.amdhsa_system_vgpr_workitem_id 0
		.amdhsa_next_free_vgpr 1
		.amdhsa_next_free_sgpr 0
		.amdhsa_accum_offset 4
		.amdhsa_reserve_vcc 0
		.amdhsa_float_round_mode_32 0
		.amdhsa_float_round_mode_16_64 0
		.amdhsa_float_denorm_mode_32 3
		.amdhsa_float_denorm_mode_16_64 3
		.amdhsa_dx10_clamp 1
		.amdhsa_ieee_mode 1
		.amdhsa_fp16_overflow 0
		.amdhsa_tg_split 0
		.amdhsa_exception_fp_ieee_invalid_op 0
		.amdhsa_exception_fp_denorm_src 0
		.amdhsa_exception_fp_ieee_div_zero 0
		.amdhsa_exception_fp_ieee_overflow 0
		.amdhsa_exception_fp_ieee_underflow 0
		.amdhsa_exception_fp_ieee_inexact 0
		.amdhsa_exception_int_div_zero 0
	.end_amdhsa_kernel
	.section	.text._ZN7rocprim17ROCPRIM_400000_NS6detail17trampoline_kernelINS0_14default_configENS1_25transform_config_selectorINS0_10empty_typeELb1EEEZNS1_14transform_implILb1ES3_S6_PS5_S8_NS0_8identityIS5_EEEE10hipError_tT2_T3_mT4_P12ihipStream_tbEUlT_E_NS1_11comp_targetILNS1_3genE2ELNS1_11target_archE906ELNS1_3gpuE6ELNS1_3repE0EEENS1_30default_config_static_selectorELNS0_4arch9wavefront6targetE1EEEvT1_,"axG",@progbits,_ZN7rocprim17ROCPRIM_400000_NS6detail17trampoline_kernelINS0_14default_configENS1_25transform_config_selectorINS0_10empty_typeELb1EEEZNS1_14transform_implILb1ES3_S6_PS5_S8_NS0_8identityIS5_EEEE10hipError_tT2_T3_mT4_P12ihipStream_tbEUlT_E_NS1_11comp_targetILNS1_3genE2ELNS1_11target_archE906ELNS1_3gpuE6ELNS1_3repE0EEENS1_30default_config_static_selectorELNS0_4arch9wavefront6targetE1EEEvT1_,comdat
.Lfunc_end89:
	.size	_ZN7rocprim17ROCPRIM_400000_NS6detail17trampoline_kernelINS0_14default_configENS1_25transform_config_selectorINS0_10empty_typeELb1EEEZNS1_14transform_implILb1ES3_S6_PS5_S8_NS0_8identityIS5_EEEE10hipError_tT2_T3_mT4_P12ihipStream_tbEUlT_E_NS1_11comp_targetILNS1_3genE2ELNS1_11target_archE906ELNS1_3gpuE6ELNS1_3repE0EEENS1_30default_config_static_selectorELNS0_4arch9wavefront6targetE1EEEvT1_, .Lfunc_end89-_ZN7rocprim17ROCPRIM_400000_NS6detail17trampoline_kernelINS0_14default_configENS1_25transform_config_selectorINS0_10empty_typeELb1EEEZNS1_14transform_implILb1ES3_S6_PS5_S8_NS0_8identityIS5_EEEE10hipError_tT2_T3_mT4_P12ihipStream_tbEUlT_E_NS1_11comp_targetILNS1_3genE2ELNS1_11target_archE906ELNS1_3gpuE6ELNS1_3repE0EEENS1_30default_config_static_selectorELNS0_4arch9wavefront6targetE1EEEvT1_
                                        ; -- End function
	.section	.AMDGPU.csdata,"",@progbits
; Kernel info:
; codeLenInByte = 0
; NumSgprs: 6
; NumVgprs: 0
; NumAgprs: 0
; TotalNumVgprs: 0
; ScratchSize: 0
; MemoryBound: 0
; FloatMode: 240
; IeeeMode: 1
; LDSByteSize: 0 bytes/workgroup (compile time only)
; SGPRBlocks: 0
; VGPRBlocks: 0
; NumSGPRsForWavesPerEU: 6
; NumVGPRsForWavesPerEU: 1
; AccumOffset: 4
; Occupancy: 8
; WaveLimiterHint : 0
; COMPUTE_PGM_RSRC2:SCRATCH_EN: 0
; COMPUTE_PGM_RSRC2:USER_SGPR: 2
; COMPUTE_PGM_RSRC2:TRAP_HANDLER: 0
; COMPUTE_PGM_RSRC2:TGID_X_EN: 1
; COMPUTE_PGM_RSRC2:TGID_Y_EN: 0
; COMPUTE_PGM_RSRC2:TGID_Z_EN: 0
; COMPUTE_PGM_RSRC2:TIDIG_COMP_CNT: 0
; COMPUTE_PGM_RSRC3_GFX90A:ACCUM_OFFSET: 0
; COMPUTE_PGM_RSRC3_GFX90A:TG_SPLIT: 0
	.section	.text._ZN7rocprim17ROCPRIM_400000_NS6detail17trampoline_kernelINS0_14default_configENS1_25transform_config_selectorINS0_10empty_typeELb1EEEZNS1_14transform_implILb1ES3_S6_PS5_S8_NS0_8identityIS5_EEEE10hipError_tT2_T3_mT4_P12ihipStream_tbEUlT_E_NS1_11comp_targetILNS1_3genE9ELNS1_11target_archE1100ELNS1_3gpuE3ELNS1_3repE0EEENS1_30default_config_static_selectorELNS0_4arch9wavefront6targetE1EEEvT1_,"axG",@progbits,_ZN7rocprim17ROCPRIM_400000_NS6detail17trampoline_kernelINS0_14default_configENS1_25transform_config_selectorINS0_10empty_typeELb1EEEZNS1_14transform_implILb1ES3_S6_PS5_S8_NS0_8identityIS5_EEEE10hipError_tT2_T3_mT4_P12ihipStream_tbEUlT_E_NS1_11comp_targetILNS1_3genE9ELNS1_11target_archE1100ELNS1_3gpuE3ELNS1_3repE0EEENS1_30default_config_static_selectorELNS0_4arch9wavefront6targetE1EEEvT1_,comdat
	.protected	_ZN7rocprim17ROCPRIM_400000_NS6detail17trampoline_kernelINS0_14default_configENS1_25transform_config_selectorINS0_10empty_typeELb1EEEZNS1_14transform_implILb1ES3_S6_PS5_S8_NS0_8identityIS5_EEEE10hipError_tT2_T3_mT4_P12ihipStream_tbEUlT_E_NS1_11comp_targetILNS1_3genE9ELNS1_11target_archE1100ELNS1_3gpuE3ELNS1_3repE0EEENS1_30default_config_static_selectorELNS0_4arch9wavefront6targetE1EEEvT1_ ; -- Begin function _ZN7rocprim17ROCPRIM_400000_NS6detail17trampoline_kernelINS0_14default_configENS1_25transform_config_selectorINS0_10empty_typeELb1EEEZNS1_14transform_implILb1ES3_S6_PS5_S8_NS0_8identityIS5_EEEE10hipError_tT2_T3_mT4_P12ihipStream_tbEUlT_E_NS1_11comp_targetILNS1_3genE9ELNS1_11target_archE1100ELNS1_3gpuE3ELNS1_3repE0EEENS1_30default_config_static_selectorELNS0_4arch9wavefront6targetE1EEEvT1_
	.globl	_ZN7rocprim17ROCPRIM_400000_NS6detail17trampoline_kernelINS0_14default_configENS1_25transform_config_selectorINS0_10empty_typeELb1EEEZNS1_14transform_implILb1ES3_S6_PS5_S8_NS0_8identityIS5_EEEE10hipError_tT2_T3_mT4_P12ihipStream_tbEUlT_E_NS1_11comp_targetILNS1_3genE9ELNS1_11target_archE1100ELNS1_3gpuE3ELNS1_3repE0EEENS1_30default_config_static_selectorELNS0_4arch9wavefront6targetE1EEEvT1_
	.p2align	8
	.type	_ZN7rocprim17ROCPRIM_400000_NS6detail17trampoline_kernelINS0_14default_configENS1_25transform_config_selectorINS0_10empty_typeELb1EEEZNS1_14transform_implILb1ES3_S6_PS5_S8_NS0_8identityIS5_EEEE10hipError_tT2_T3_mT4_P12ihipStream_tbEUlT_E_NS1_11comp_targetILNS1_3genE9ELNS1_11target_archE1100ELNS1_3gpuE3ELNS1_3repE0EEENS1_30default_config_static_selectorELNS0_4arch9wavefront6targetE1EEEvT1_,@function
_ZN7rocprim17ROCPRIM_400000_NS6detail17trampoline_kernelINS0_14default_configENS1_25transform_config_selectorINS0_10empty_typeELb1EEEZNS1_14transform_implILb1ES3_S6_PS5_S8_NS0_8identityIS5_EEEE10hipError_tT2_T3_mT4_P12ihipStream_tbEUlT_E_NS1_11comp_targetILNS1_3genE9ELNS1_11target_archE1100ELNS1_3gpuE3ELNS1_3repE0EEENS1_30default_config_static_selectorELNS0_4arch9wavefront6targetE1EEEvT1_: ; @_ZN7rocprim17ROCPRIM_400000_NS6detail17trampoline_kernelINS0_14default_configENS1_25transform_config_selectorINS0_10empty_typeELb1EEEZNS1_14transform_implILb1ES3_S6_PS5_S8_NS0_8identityIS5_EEEE10hipError_tT2_T3_mT4_P12ihipStream_tbEUlT_E_NS1_11comp_targetILNS1_3genE9ELNS1_11target_archE1100ELNS1_3gpuE3ELNS1_3repE0EEENS1_30default_config_static_selectorELNS0_4arch9wavefront6targetE1EEEvT1_
; %bb.0:
	.section	.rodata,"a",@progbits
	.p2align	6, 0x0
	.amdhsa_kernel _ZN7rocprim17ROCPRIM_400000_NS6detail17trampoline_kernelINS0_14default_configENS1_25transform_config_selectorINS0_10empty_typeELb1EEEZNS1_14transform_implILb1ES3_S6_PS5_S8_NS0_8identityIS5_EEEE10hipError_tT2_T3_mT4_P12ihipStream_tbEUlT_E_NS1_11comp_targetILNS1_3genE9ELNS1_11target_archE1100ELNS1_3gpuE3ELNS1_3repE0EEENS1_30default_config_static_selectorELNS0_4arch9wavefront6targetE1EEEvT1_
		.amdhsa_group_segment_fixed_size 0
		.amdhsa_private_segment_fixed_size 0
		.amdhsa_kernarg_size 40
		.amdhsa_user_sgpr_count 2
		.amdhsa_user_sgpr_dispatch_ptr 0
		.amdhsa_user_sgpr_queue_ptr 0
		.amdhsa_user_sgpr_kernarg_segment_ptr 1
		.amdhsa_user_sgpr_dispatch_id 0
		.amdhsa_user_sgpr_kernarg_preload_length 0
		.amdhsa_user_sgpr_kernarg_preload_offset 0
		.amdhsa_user_sgpr_private_segment_size 0
		.amdhsa_uses_dynamic_stack 0
		.amdhsa_enable_private_segment 0
		.amdhsa_system_sgpr_workgroup_id_x 1
		.amdhsa_system_sgpr_workgroup_id_y 0
		.amdhsa_system_sgpr_workgroup_id_z 0
		.amdhsa_system_sgpr_workgroup_info 0
		.amdhsa_system_vgpr_workitem_id 0
		.amdhsa_next_free_vgpr 1
		.amdhsa_next_free_sgpr 0
		.amdhsa_accum_offset 4
		.amdhsa_reserve_vcc 0
		.amdhsa_float_round_mode_32 0
		.amdhsa_float_round_mode_16_64 0
		.amdhsa_float_denorm_mode_32 3
		.amdhsa_float_denorm_mode_16_64 3
		.amdhsa_dx10_clamp 1
		.amdhsa_ieee_mode 1
		.amdhsa_fp16_overflow 0
		.amdhsa_tg_split 0
		.amdhsa_exception_fp_ieee_invalid_op 0
		.amdhsa_exception_fp_denorm_src 0
		.amdhsa_exception_fp_ieee_div_zero 0
		.amdhsa_exception_fp_ieee_overflow 0
		.amdhsa_exception_fp_ieee_underflow 0
		.amdhsa_exception_fp_ieee_inexact 0
		.amdhsa_exception_int_div_zero 0
	.end_amdhsa_kernel
	.section	.text._ZN7rocprim17ROCPRIM_400000_NS6detail17trampoline_kernelINS0_14default_configENS1_25transform_config_selectorINS0_10empty_typeELb1EEEZNS1_14transform_implILb1ES3_S6_PS5_S8_NS0_8identityIS5_EEEE10hipError_tT2_T3_mT4_P12ihipStream_tbEUlT_E_NS1_11comp_targetILNS1_3genE9ELNS1_11target_archE1100ELNS1_3gpuE3ELNS1_3repE0EEENS1_30default_config_static_selectorELNS0_4arch9wavefront6targetE1EEEvT1_,"axG",@progbits,_ZN7rocprim17ROCPRIM_400000_NS6detail17trampoline_kernelINS0_14default_configENS1_25transform_config_selectorINS0_10empty_typeELb1EEEZNS1_14transform_implILb1ES3_S6_PS5_S8_NS0_8identityIS5_EEEE10hipError_tT2_T3_mT4_P12ihipStream_tbEUlT_E_NS1_11comp_targetILNS1_3genE9ELNS1_11target_archE1100ELNS1_3gpuE3ELNS1_3repE0EEENS1_30default_config_static_selectorELNS0_4arch9wavefront6targetE1EEEvT1_,comdat
.Lfunc_end90:
	.size	_ZN7rocprim17ROCPRIM_400000_NS6detail17trampoline_kernelINS0_14default_configENS1_25transform_config_selectorINS0_10empty_typeELb1EEEZNS1_14transform_implILb1ES3_S6_PS5_S8_NS0_8identityIS5_EEEE10hipError_tT2_T3_mT4_P12ihipStream_tbEUlT_E_NS1_11comp_targetILNS1_3genE9ELNS1_11target_archE1100ELNS1_3gpuE3ELNS1_3repE0EEENS1_30default_config_static_selectorELNS0_4arch9wavefront6targetE1EEEvT1_, .Lfunc_end90-_ZN7rocprim17ROCPRIM_400000_NS6detail17trampoline_kernelINS0_14default_configENS1_25transform_config_selectorINS0_10empty_typeELb1EEEZNS1_14transform_implILb1ES3_S6_PS5_S8_NS0_8identityIS5_EEEE10hipError_tT2_T3_mT4_P12ihipStream_tbEUlT_E_NS1_11comp_targetILNS1_3genE9ELNS1_11target_archE1100ELNS1_3gpuE3ELNS1_3repE0EEENS1_30default_config_static_selectorELNS0_4arch9wavefront6targetE1EEEvT1_
                                        ; -- End function
	.section	.AMDGPU.csdata,"",@progbits
; Kernel info:
; codeLenInByte = 0
; NumSgprs: 6
; NumVgprs: 0
; NumAgprs: 0
; TotalNumVgprs: 0
; ScratchSize: 0
; MemoryBound: 0
; FloatMode: 240
; IeeeMode: 1
; LDSByteSize: 0 bytes/workgroup (compile time only)
; SGPRBlocks: 0
; VGPRBlocks: 0
; NumSGPRsForWavesPerEU: 6
; NumVGPRsForWavesPerEU: 1
; AccumOffset: 4
; Occupancy: 8
; WaveLimiterHint : 0
; COMPUTE_PGM_RSRC2:SCRATCH_EN: 0
; COMPUTE_PGM_RSRC2:USER_SGPR: 2
; COMPUTE_PGM_RSRC2:TRAP_HANDLER: 0
; COMPUTE_PGM_RSRC2:TGID_X_EN: 1
; COMPUTE_PGM_RSRC2:TGID_Y_EN: 0
; COMPUTE_PGM_RSRC2:TGID_Z_EN: 0
; COMPUTE_PGM_RSRC2:TIDIG_COMP_CNT: 0
; COMPUTE_PGM_RSRC3_GFX90A:ACCUM_OFFSET: 0
; COMPUTE_PGM_RSRC3_GFX90A:TG_SPLIT: 0
	.section	.text._ZN7rocprim17ROCPRIM_400000_NS6detail17trampoline_kernelINS0_14default_configENS1_25transform_config_selectorINS0_10empty_typeELb1EEEZNS1_14transform_implILb1ES3_S6_PS5_S8_NS0_8identityIS5_EEEE10hipError_tT2_T3_mT4_P12ihipStream_tbEUlT_E_NS1_11comp_targetILNS1_3genE8ELNS1_11target_archE1030ELNS1_3gpuE2ELNS1_3repE0EEENS1_30default_config_static_selectorELNS0_4arch9wavefront6targetE1EEEvT1_,"axG",@progbits,_ZN7rocprim17ROCPRIM_400000_NS6detail17trampoline_kernelINS0_14default_configENS1_25transform_config_selectorINS0_10empty_typeELb1EEEZNS1_14transform_implILb1ES3_S6_PS5_S8_NS0_8identityIS5_EEEE10hipError_tT2_T3_mT4_P12ihipStream_tbEUlT_E_NS1_11comp_targetILNS1_3genE8ELNS1_11target_archE1030ELNS1_3gpuE2ELNS1_3repE0EEENS1_30default_config_static_selectorELNS0_4arch9wavefront6targetE1EEEvT1_,comdat
	.protected	_ZN7rocprim17ROCPRIM_400000_NS6detail17trampoline_kernelINS0_14default_configENS1_25transform_config_selectorINS0_10empty_typeELb1EEEZNS1_14transform_implILb1ES3_S6_PS5_S8_NS0_8identityIS5_EEEE10hipError_tT2_T3_mT4_P12ihipStream_tbEUlT_E_NS1_11comp_targetILNS1_3genE8ELNS1_11target_archE1030ELNS1_3gpuE2ELNS1_3repE0EEENS1_30default_config_static_selectorELNS0_4arch9wavefront6targetE1EEEvT1_ ; -- Begin function _ZN7rocprim17ROCPRIM_400000_NS6detail17trampoline_kernelINS0_14default_configENS1_25transform_config_selectorINS0_10empty_typeELb1EEEZNS1_14transform_implILb1ES3_S6_PS5_S8_NS0_8identityIS5_EEEE10hipError_tT2_T3_mT4_P12ihipStream_tbEUlT_E_NS1_11comp_targetILNS1_3genE8ELNS1_11target_archE1030ELNS1_3gpuE2ELNS1_3repE0EEENS1_30default_config_static_selectorELNS0_4arch9wavefront6targetE1EEEvT1_
	.globl	_ZN7rocprim17ROCPRIM_400000_NS6detail17trampoline_kernelINS0_14default_configENS1_25transform_config_selectorINS0_10empty_typeELb1EEEZNS1_14transform_implILb1ES3_S6_PS5_S8_NS0_8identityIS5_EEEE10hipError_tT2_T3_mT4_P12ihipStream_tbEUlT_E_NS1_11comp_targetILNS1_3genE8ELNS1_11target_archE1030ELNS1_3gpuE2ELNS1_3repE0EEENS1_30default_config_static_selectorELNS0_4arch9wavefront6targetE1EEEvT1_
	.p2align	8
	.type	_ZN7rocprim17ROCPRIM_400000_NS6detail17trampoline_kernelINS0_14default_configENS1_25transform_config_selectorINS0_10empty_typeELb1EEEZNS1_14transform_implILb1ES3_S6_PS5_S8_NS0_8identityIS5_EEEE10hipError_tT2_T3_mT4_P12ihipStream_tbEUlT_E_NS1_11comp_targetILNS1_3genE8ELNS1_11target_archE1030ELNS1_3gpuE2ELNS1_3repE0EEENS1_30default_config_static_selectorELNS0_4arch9wavefront6targetE1EEEvT1_,@function
_ZN7rocprim17ROCPRIM_400000_NS6detail17trampoline_kernelINS0_14default_configENS1_25transform_config_selectorINS0_10empty_typeELb1EEEZNS1_14transform_implILb1ES3_S6_PS5_S8_NS0_8identityIS5_EEEE10hipError_tT2_T3_mT4_P12ihipStream_tbEUlT_E_NS1_11comp_targetILNS1_3genE8ELNS1_11target_archE1030ELNS1_3gpuE2ELNS1_3repE0EEENS1_30default_config_static_selectorELNS0_4arch9wavefront6targetE1EEEvT1_: ; @_ZN7rocprim17ROCPRIM_400000_NS6detail17trampoline_kernelINS0_14default_configENS1_25transform_config_selectorINS0_10empty_typeELb1EEEZNS1_14transform_implILb1ES3_S6_PS5_S8_NS0_8identityIS5_EEEE10hipError_tT2_T3_mT4_P12ihipStream_tbEUlT_E_NS1_11comp_targetILNS1_3genE8ELNS1_11target_archE1030ELNS1_3gpuE2ELNS1_3repE0EEENS1_30default_config_static_selectorELNS0_4arch9wavefront6targetE1EEEvT1_
; %bb.0:
	.section	.rodata,"a",@progbits
	.p2align	6, 0x0
	.amdhsa_kernel _ZN7rocprim17ROCPRIM_400000_NS6detail17trampoline_kernelINS0_14default_configENS1_25transform_config_selectorINS0_10empty_typeELb1EEEZNS1_14transform_implILb1ES3_S6_PS5_S8_NS0_8identityIS5_EEEE10hipError_tT2_T3_mT4_P12ihipStream_tbEUlT_E_NS1_11comp_targetILNS1_3genE8ELNS1_11target_archE1030ELNS1_3gpuE2ELNS1_3repE0EEENS1_30default_config_static_selectorELNS0_4arch9wavefront6targetE1EEEvT1_
		.amdhsa_group_segment_fixed_size 0
		.amdhsa_private_segment_fixed_size 0
		.amdhsa_kernarg_size 40
		.amdhsa_user_sgpr_count 2
		.amdhsa_user_sgpr_dispatch_ptr 0
		.amdhsa_user_sgpr_queue_ptr 0
		.amdhsa_user_sgpr_kernarg_segment_ptr 1
		.amdhsa_user_sgpr_dispatch_id 0
		.amdhsa_user_sgpr_kernarg_preload_length 0
		.amdhsa_user_sgpr_kernarg_preload_offset 0
		.amdhsa_user_sgpr_private_segment_size 0
		.amdhsa_uses_dynamic_stack 0
		.amdhsa_enable_private_segment 0
		.amdhsa_system_sgpr_workgroup_id_x 1
		.amdhsa_system_sgpr_workgroup_id_y 0
		.amdhsa_system_sgpr_workgroup_id_z 0
		.amdhsa_system_sgpr_workgroup_info 0
		.amdhsa_system_vgpr_workitem_id 0
		.amdhsa_next_free_vgpr 1
		.amdhsa_next_free_sgpr 0
		.amdhsa_accum_offset 4
		.amdhsa_reserve_vcc 0
		.amdhsa_float_round_mode_32 0
		.amdhsa_float_round_mode_16_64 0
		.amdhsa_float_denorm_mode_32 3
		.amdhsa_float_denorm_mode_16_64 3
		.amdhsa_dx10_clamp 1
		.amdhsa_ieee_mode 1
		.amdhsa_fp16_overflow 0
		.amdhsa_tg_split 0
		.amdhsa_exception_fp_ieee_invalid_op 0
		.amdhsa_exception_fp_denorm_src 0
		.amdhsa_exception_fp_ieee_div_zero 0
		.amdhsa_exception_fp_ieee_overflow 0
		.amdhsa_exception_fp_ieee_underflow 0
		.amdhsa_exception_fp_ieee_inexact 0
		.amdhsa_exception_int_div_zero 0
	.end_amdhsa_kernel
	.section	.text._ZN7rocprim17ROCPRIM_400000_NS6detail17trampoline_kernelINS0_14default_configENS1_25transform_config_selectorINS0_10empty_typeELb1EEEZNS1_14transform_implILb1ES3_S6_PS5_S8_NS0_8identityIS5_EEEE10hipError_tT2_T3_mT4_P12ihipStream_tbEUlT_E_NS1_11comp_targetILNS1_3genE8ELNS1_11target_archE1030ELNS1_3gpuE2ELNS1_3repE0EEENS1_30default_config_static_selectorELNS0_4arch9wavefront6targetE1EEEvT1_,"axG",@progbits,_ZN7rocprim17ROCPRIM_400000_NS6detail17trampoline_kernelINS0_14default_configENS1_25transform_config_selectorINS0_10empty_typeELb1EEEZNS1_14transform_implILb1ES3_S6_PS5_S8_NS0_8identityIS5_EEEE10hipError_tT2_T3_mT4_P12ihipStream_tbEUlT_E_NS1_11comp_targetILNS1_3genE8ELNS1_11target_archE1030ELNS1_3gpuE2ELNS1_3repE0EEENS1_30default_config_static_selectorELNS0_4arch9wavefront6targetE1EEEvT1_,comdat
.Lfunc_end91:
	.size	_ZN7rocprim17ROCPRIM_400000_NS6detail17trampoline_kernelINS0_14default_configENS1_25transform_config_selectorINS0_10empty_typeELb1EEEZNS1_14transform_implILb1ES3_S6_PS5_S8_NS0_8identityIS5_EEEE10hipError_tT2_T3_mT4_P12ihipStream_tbEUlT_E_NS1_11comp_targetILNS1_3genE8ELNS1_11target_archE1030ELNS1_3gpuE2ELNS1_3repE0EEENS1_30default_config_static_selectorELNS0_4arch9wavefront6targetE1EEEvT1_, .Lfunc_end91-_ZN7rocprim17ROCPRIM_400000_NS6detail17trampoline_kernelINS0_14default_configENS1_25transform_config_selectorINS0_10empty_typeELb1EEEZNS1_14transform_implILb1ES3_S6_PS5_S8_NS0_8identityIS5_EEEE10hipError_tT2_T3_mT4_P12ihipStream_tbEUlT_E_NS1_11comp_targetILNS1_3genE8ELNS1_11target_archE1030ELNS1_3gpuE2ELNS1_3repE0EEENS1_30default_config_static_selectorELNS0_4arch9wavefront6targetE1EEEvT1_
                                        ; -- End function
	.section	.AMDGPU.csdata,"",@progbits
; Kernel info:
; codeLenInByte = 0
; NumSgprs: 6
; NumVgprs: 0
; NumAgprs: 0
; TotalNumVgprs: 0
; ScratchSize: 0
; MemoryBound: 0
; FloatMode: 240
; IeeeMode: 1
; LDSByteSize: 0 bytes/workgroup (compile time only)
; SGPRBlocks: 0
; VGPRBlocks: 0
; NumSGPRsForWavesPerEU: 6
; NumVGPRsForWavesPerEU: 1
; AccumOffset: 4
; Occupancy: 8
; WaveLimiterHint : 0
; COMPUTE_PGM_RSRC2:SCRATCH_EN: 0
; COMPUTE_PGM_RSRC2:USER_SGPR: 2
; COMPUTE_PGM_RSRC2:TRAP_HANDLER: 0
; COMPUTE_PGM_RSRC2:TGID_X_EN: 1
; COMPUTE_PGM_RSRC2:TGID_Y_EN: 0
; COMPUTE_PGM_RSRC2:TGID_Z_EN: 0
; COMPUTE_PGM_RSRC2:TIDIG_COMP_CNT: 0
; COMPUTE_PGM_RSRC3_GFX90A:ACCUM_OFFSET: 0
; COMPUTE_PGM_RSRC3_GFX90A:TG_SPLIT: 0
	.section	.text._ZN6thrust23THRUST_200600_302600_NS11hip_rocprim14__parallel_for6kernelILj256ENS1_11__transform17unary_transform_fINS0_10device_ptrINS0_5tupleIffNS0_9null_typeES8_S8_S8_S8_S8_S8_S8_EEEESA_NS4_14no_stencil_tagENS0_8identityIS9_EENS4_21always_true_predicateEEElLj1EEEvT0_T1_SH_,"axG",@progbits,_ZN6thrust23THRUST_200600_302600_NS11hip_rocprim14__parallel_for6kernelILj256ENS1_11__transform17unary_transform_fINS0_10device_ptrINS0_5tupleIffNS0_9null_typeES8_S8_S8_S8_S8_S8_S8_EEEESA_NS4_14no_stencil_tagENS0_8identityIS9_EENS4_21always_true_predicateEEElLj1EEEvT0_T1_SH_,comdat
	.protected	_ZN6thrust23THRUST_200600_302600_NS11hip_rocprim14__parallel_for6kernelILj256ENS1_11__transform17unary_transform_fINS0_10device_ptrINS0_5tupleIffNS0_9null_typeES8_S8_S8_S8_S8_S8_S8_EEEESA_NS4_14no_stencil_tagENS0_8identityIS9_EENS4_21always_true_predicateEEElLj1EEEvT0_T1_SH_ ; -- Begin function _ZN6thrust23THRUST_200600_302600_NS11hip_rocprim14__parallel_for6kernelILj256ENS1_11__transform17unary_transform_fINS0_10device_ptrINS0_5tupleIffNS0_9null_typeES8_S8_S8_S8_S8_S8_S8_EEEESA_NS4_14no_stencil_tagENS0_8identityIS9_EENS4_21always_true_predicateEEElLj1EEEvT0_T1_SH_
	.globl	_ZN6thrust23THRUST_200600_302600_NS11hip_rocprim14__parallel_for6kernelILj256ENS1_11__transform17unary_transform_fINS0_10device_ptrINS0_5tupleIffNS0_9null_typeES8_S8_S8_S8_S8_S8_S8_EEEESA_NS4_14no_stencil_tagENS0_8identityIS9_EENS4_21always_true_predicateEEElLj1EEEvT0_T1_SH_
	.p2align	8
	.type	_ZN6thrust23THRUST_200600_302600_NS11hip_rocprim14__parallel_for6kernelILj256ENS1_11__transform17unary_transform_fINS0_10device_ptrINS0_5tupleIffNS0_9null_typeES8_S8_S8_S8_S8_S8_S8_EEEESA_NS4_14no_stencil_tagENS0_8identityIS9_EENS4_21always_true_predicateEEElLj1EEEvT0_T1_SH_,@function
_ZN6thrust23THRUST_200600_302600_NS11hip_rocprim14__parallel_for6kernelILj256ENS1_11__transform17unary_transform_fINS0_10device_ptrINS0_5tupleIffNS0_9null_typeES8_S8_S8_S8_S8_S8_S8_EEEESA_NS4_14no_stencil_tagENS0_8identityIS9_EENS4_21always_true_predicateEEElLj1EEEvT0_T1_SH_: ; @_ZN6thrust23THRUST_200600_302600_NS11hip_rocprim14__parallel_for6kernelILj256ENS1_11__transform17unary_transform_fINS0_10device_ptrINS0_5tupleIffNS0_9null_typeES8_S8_S8_S8_S8_S8_S8_EEEESA_NS4_14no_stencil_tagENS0_8identityIS9_EENS4_21always_true_predicateEEElLj1EEEvT0_T1_SH_
; %bb.0:
	s_load_dwordx4 s[8:11], s[0:1], 0x18
	s_load_dwordx4 s[4:7], s[0:1], 0x0
	s_lshl_b32 s0, s2, 8
	v_mov_b64_e32 v[2:3], 0x100
	s_waitcnt lgkmcnt(0)
	s_add_u32 s0, s0, s10
	s_addc_u32 s1, 0, s11
	s_sub_u32 s2, s8, s0
	s_subb_u32 s3, s9, s1
	v_cmp_lt_i64_e32 vcc, s[2:3], v[2:3]
	s_and_b64 s[8:9], vcc, exec
	s_cselect_b32 s8, s2, 0x100
	s_cmpk_lg_i32 s8, 0x100
	s_mov_b64 s[2:3], -1
	s_cbranch_scc1 .LBB92_3
; %bb.1:
	s_andn2_b64 vcc, exec, s[2:3]
	s_cbranch_vccz .LBB92_6
.LBB92_2:
	s_endpgm
.LBB92_3:
	v_cmp_gt_u32_e32 vcc, s8, v0
	s_and_saveexec_b64 s[2:3], vcc
	s_cbranch_execz .LBB92_5
; %bb.4:
	v_mov_b32_e32 v1, 0
	v_lshl_add_u64 v[2:3], s[0:1], 0, v[0:1]
	v_lshlrev_b64 v[2:3], 3, v[2:3]
	v_lshl_add_u64 v[4:5], s[4:5], 0, v[2:3]
	flat_load_dwordx2 v[4:5], v[4:5]
	v_lshl_add_u64 v[2:3], s[6:7], 0, v[2:3]
	s_waitcnt vmcnt(0) lgkmcnt(0)
	flat_store_dwordx2 v[2:3], v[4:5]
.LBB92_5:
	s_or_b64 exec, exec, s[2:3]
	s_cbranch_execnz .LBB92_2
.LBB92_6:
	v_mov_b32_e32 v1, 0
	v_lshl_add_u64 v[0:1], s[0:1], 0, v[0:1]
	v_lshlrev_b64 v[0:1], 3, v[0:1]
	v_lshl_add_u64 v[2:3], s[4:5], 0, v[0:1]
	flat_load_dwordx2 v[2:3], v[2:3]
	v_lshl_add_u64 v[0:1], s[6:7], 0, v[0:1]
	s_waitcnt vmcnt(0) lgkmcnt(0)
	flat_store_dwordx2 v[0:1], v[2:3]
	s_endpgm
	.section	.rodata,"a",@progbits
	.p2align	6, 0x0
	.amdhsa_kernel _ZN6thrust23THRUST_200600_302600_NS11hip_rocprim14__parallel_for6kernelILj256ENS1_11__transform17unary_transform_fINS0_10device_ptrINS0_5tupleIffNS0_9null_typeES8_S8_S8_S8_S8_S8_S8_EEEESA_NS4_14no_stencil_tagENS0_8identityIS9_EENS4_21always_true_predicateEEElLj1EEEvT0_T1_SH_
		.amdhsa_group_segment_fixed_size 0
		.amdhsa_private_segment_fixed_size 0
		.amdhsa_kernarg_size 40
		.amdhsa_user_sgpr_count 2
		.amdhsa_user_sgpr_dispatch_ptr 0
		.amdhsa_user_sgpr_queue_ptr 0
		.amdhsa_user_sgpr_kernarg_segment_ptr 1
		.amdhsa_user_sgpr_dispatch_id 0
		.amdhsa_user_sgpr_kernarg_preload_length 0
		.amdhsa_user_sgpr_kernarg_preload_offset 0
		.amdhsa_user_sgpr_private_segment_size 0
		.amdhsa_uses_dynamic_stack 0
		.amdhsa_enable_private_segment 0
		.amdhsa_system_sgpr_workgroup_id_x 1
		.amdhsa_system_sgpr_workgroup_id_y 0
		.amdhsa_system_sgpr_workgroup_id_z 0
		.amdhsa_system_sgpr_workgroup_info 0
		.amdhsa_system_vgpr_workitem_id 0
		.amdhsa_next_free_vgpr 6
		.amdhsa_next_free_sgpr 12
		.amdhsa_accum_offset 8
		.amdhsa_reserve_vcc 1
		.amdhsa_float_round_mode_32 0
		.amdhsa_float_round_mode_16_64 0
		.amdhsa_float_denorm_mode_32 3
		.amdhsa_float_denorm_mode_16_64 3
		.amdhsa_dx10_clamp 1
		.amdhsa_ieee_mode 1
		.amdhsa_fp16_overflow 0
		.amdhsa_tg_split 0
		.amdhsa_exception_fp_ieee_invalid_op 0
		.amdhsa_exception_fp_denorm_src 0
		.amdhsa_exception_fp_ieee_div_zero 0
		.amdhsa_exception_fp_ieee_overflow 0
		.amdhsa_exception_fp_ieee_underflow 0
		.amdhsa_exception_fp_ieee_inexact 0
		.amdhsa_exception_int_div_zero 0
	.end_amdhsa_kernel
	.section	.text._ZN6thrust23THRUST_200600_302600_NS11hip_rocprim14__parallel_for6kernelILj256ENS1_11__transform17unary_transform_fINS0_10device_ptrINS0_5tupleIffNS0_9null_typeES8_S8_S8_S8_S8_S8_S8_EEEESA_NS4_14no_stencil_tagENS0_8identityIS9_EENS4_21always_true_predicateEEElLj1EEEvT0_T1_SH_,"axG",@progbits,_ZN6thrust23THRUST_200600_302600_NS11hip_rocprim14__parallel_for6kernelILj256ENS1_11__transform17unary_transform_fINS0_10device_ptrINS0_5tupleIffNS0_9null_typeES8_S8_S8_S8_S8_S8_S8_EEEESA_NS4_14no_stencil_tagENS0_8identityIS9_EENS4_21always_true_predicateEEElLj1EEEvT0_T1_SH_,comdat
.Lfunc_end92:
	.size	_ZN6thrust23THRUST_200600_302600_NS11hip_rocprim14__parallel_for6kernelILj256ENS1_11__transform17unary_transform_fINS0_10device_ptrINS0_5tupleIffNS0_9null_typeES8_S8_S8_S8_S8_S8_S8_EEEESA_NS4_14no_stencil_tagENS0_8identityIS9_EENS4_21always_true_predicateEEElLj1EEEvT0_T1_SH_, .Lfunc_end92-_ZN6thrust23THRUST_200600_302600_NS11hip_rocprim14__parallel_for6kernelILj256ENS1_11__transform17unary_transform_fINS0_10device_ptrINS0_5tupleIffNS0_9null_typeES8_S8_S8_S8_S8_S8_S8_EEEESA_NS4_14no_stencil_tagENS0_8identityIS9_EENS4_21always_true_predicateEEElLj1EEEvT0_T1_SH_
                                        ; -- End function
	.section	.AMDGPU.csdata,"",@progbits
; Kernel info:
; codeLenInByte = 224
; NumSgprs: 18
; NumVgprs: 6
; NumAgprs: 0
; TotalNumVgprs: 6
; ScratchSize: 0
; MemoryBound: 0
; FloatMode: 240
; IeeeMode: 1
; LDSByteSize: 0 bytes/workgroup (compile time only)
; SGPRBlocks: 2
; VGPRBlocks: 0
; NumSGPRsForWavesPerEU: 18
; NumVGPRsForWavesPerEU: 6
; AccumOffset: 8
; Occupancy: 8
; WaveLimiterHint : 0
; COMPUTE_PGM_RSRC2:SCRATCH_EN: 0
; COMPUTE_PGM_RSRC2:USER_SGPR: 2
; COMPUTE_PGM_RSRC2:TRAP_HANDLER: 0
; COMPUTE_PGM_RSRC2:TGID_X_EN: 1
; COMPUTE_PGM_RSRC2:TGID_Y_EN: 0
; COMPUTE_PGM_RSRC2:TGID_Z_EN: 0
; COMPUTE_PGM_RSRC2:TIDIG_COMP_CNT: 0
; COMPUTE_PGM_RSRC3_GFX90A:ACCUM_OFFSET: 1
; COMPUTE_PGM_RSRC3_GFX90A:TG_SPLIT: 0
	.section	.text._ZN7rocprim17ROCPRIM_400000_NS6detail31init_lookback_scan_state_kernelINS1_19lookback_scan_stateIjLb0ELb1EEENS1_16block_id_wrapperIjLb0EEEEEvT_jT0_jPNS7_10value_typeE,"axG",@progbits,_ZN7rocprim17ROCPRIM_400000_NS6detail31init_lookback_scan_state_kernelINS1_19lookback_scan_stateIjLb0ELb1EEENS1_16block_id_wrapperIjLb0EEEEEvT_jT0_jPNS7_10value_typeE,comdat
	.protected	_ZN7rocprim17ROCPRIM_400000_NS6detail31init_lookback_scan_state_kernelINS1_19lookback_scan_stateIjLb0ELb1EEENS1_16block_id_wrapperIjLb0EEEEEvT_jT0_jPNS7_10value_typeE ; -- Begin function _ZN7rocprim17ROCPRIM_400000_NS6detail31init_lookback_scan_state_kernelINS1_19lookback_scan_stateIjLb0ELb1EEENS1_16block_id_wrapperIjLb0EEEEEvT_jT0_jPNS7_10value_typeE
	.globl	_ZN7rocprim17ROCPRIM_400000_NS6detail31init_lookback_scan_state_kernelINS1_19lookback_scan_stateIjLb0ELb1EEENS1_16block_id_wrapperIjLb0EEEEEvT_jT0_jPNS7_10value_typeE
	.p2align	8
	.type	_ZN7rocprim17ROCPRIM_400000_NS6detail31init_lookback_scan_state_kernelINS1_19lookback_scan_stateIjLb0ELb1EEENS1_16block_id_wrapperIjLb0EEEEEvT_jT0_jPNS7_10value_typeE,@function
_ZN7rocprim17ROCPRIM_400000_NS6detail31init_lookback_scan_state_kernelINS1_19lookback_scan_stateIjLb0ELb1EEENS1_16block_id_wrapperIjLb0EEEEEvT_jT0_jPNS7_10value_typeE: ; @_ZN7rocprim17ROCPRIM_400000_NS6detail31init_lookback_scan_state_kernelINS1_19lookback_scan_stateIjLb0ELb1EEENS1_16block_id_wrapperIjLb0EEEEEvT_jT0_jPNS7_10value_typeE
; %bb.0:
	s_load_dword s3, s[0:1], 0x2c
	s_load_dwordx2 s[6:7], s[0:1], 0x18
	s_load_dwordx2 s[4:5], s[0:1], 0x0
	s_load_dword s8, s[0:1], 0x8
	s_waitcnt lgkmcnt(0)
	s_and_b32 s3, s3, 0xffff
	s_mul_i32 s2, s2, s3
	s_cmp_eq_u64 s[6:7], 0
	v_add_u32_e32 v0, s2, v0
	s_cbranch_scc1 .LBB93_6
; %bb.1:
	s_load_dword s2, s[0:1], 0x10
	s_mov_b32 s3, 0
	s_waitcnt lgkmcnt(0)
	s_cmp_lt_u32 s2, s8
	s_cselect_b32 s0, s2, 0
	v_cmp_eq_u32_e32 vcc, s0, v0
	s_and_saveexec_b64 s[0:1], vcc
	s_cbranch_execz .LBB93_5
; %bb.2:
	s_add_i32 s2, s2, 64
	s_lshl_b64 s[2:3], s[2:3], 3
	s_add_u32 s2, s4, s2
	s_addc_u32 s3, s5, s3
	v_mov_b32_e32 v4, 0
	global_load_dwordx2 v[2:3], v4, s[2:3] sc1
	s_waitcnt vmcnt(0)
	v_and_b32_e32 v5, 0xff, v3
	v_cmp_ne_u64_e32 vcc, 0, v[4:5]
	s_cbranch_vccnz .LBB93_4
.LBB93_3:                               ; =>This Inner Loop Header: Depth=1
	global_load_dwordx2 v[2:3], v4, s[2:3] sc1
	s_waitcnt vmcnt(0)
	v_and_b32_e32 v5, 0xff, v3
	v_cmp_eq_u64_e32 vcc, 0, v[4:5]
	s_cbranch_vccnz .LBB93_3
.LBB93_4:
	v_mov_b32_e32 v1, 0
	global_store_dword v1, v2, s[6:7]
.LBB93_5:
	s_or_b64 exec, exec, s[0:1]
.LBB93_6:
	v_cmp_gt_u32_e32 vcc, s8, v0
	s_and_saveexec_b64 s[0:1], vcc
	s_cbranch_execnz .LBB93_9
; %bb.7:
	s_or_b64 exec, exec, s[0:1]
	v_cmp_gt_u32_e32 vcc, 64, v0
	s_and_saveexec_b64 s[0:1], vcc
	s_cbranch_execnz .LBB93_10
.LBB93_8:
	s_endpgm
.LBB93_9:
	v_add_u32_e32 v2, 64, v0
	v_mov_b32_e32 v3, 0
	v_lshl_add_u64 v[4:5], v[2:3], 3, s[4:5]
	v_mov_b32_e32 v2, v3
	global_store_dwordx2 v[4:5], v[2:3], off
	s_or_b64 exec, exec, s[0:1]
	v_cmp_gt_u32_e32 vcc, 64, v0
	s_and_saveexec_b64 s[0:1], vcc
	s_cbranch_execz .LBB93_8
.LBB93_10:
	v_mov_b32_e32 v1, 0
	v_lshl_add_u64 v[2:3], v[0:1], 3, s[4:5]
	v_mov_b32_e32 v5, 0xff
	v_mov_b32_e32 v4, v1
	global_store_dwordx2 v[2:3], v[4:5], off
	s_endpgm
	.section	.rodata,"a",@progbits
	.p2align	6, 0x0
	.amdhsa_kernel _ZN7rocprim17ROCPRIM_400000_NS6detail31init_lookback_scan_state_kernelINS1_19lookback_scan_stateIjLb0ELb1EEENS1_16block_id_wrapperIjLb0EEEEEvT_jT0_jPNS7_10value_typeE
		.amdhsa_group_segment_fixed_size 0
		.amdhsa_private_segment_fixed_size 0
		.amdhsa_kernarg_size 288
		.amdhsa_user_sgpr_count 2
		.amdhsa_user_sgpr_dispatch_ptr 0
		.amdhsa_user_sgpr_queue_ptr 0
		.amdhsa_user_sgpr_kernarg_segment_ptr 1
		.amdhsa_user_sgpr_dispatch_id 0
		.amdhsa_user_sgpr_kernarg_preload_length 0
		.amdhsa_user_sgpr_kernarg_preload_offset 0
		.amdhsa_user_sgpr_private_segment_size 0
		.amdhsa_uses_dynamic_stack 0
		.amdhsa_enable_private_segment 0
		.amdhsa_system_sgpr_workgroup_id_x 1
		.amdhsa_system_sgpr_workgroup_id_y 0
		.amdhsa_system_sgpr_workgroup_id_z 0
		.amdhsa_system_sgpr_workgroup_info 0
		.amdhsa_system_vgpr_workitem_id 0
		.amdhsa_next_free_vgpr 6
		.amdhsa_next_free_sgpr 9
		.amdhsa_accum_offset 8
		.amdhsa_reserve_vcc 1
		.amdhsa_float_round_mode_32 0
		.amdhsa_float_round_mode_16_64 0
		.amdhsa_float_denorm_mode_32 3
		.amdhsa_float_denorm_mode_16_64 3
		.amdhsa_dx10_clamp 1
		.amdhsa_ieee_mode 1
		.amdhsa_fp16_overflow 0
		.amdhsa_tg_split 0
		.amdhsa_exception_fp_ieee_invalid_op 0
		.amdhsa_exception_fp_denorm_src 0
		.amdhsa_exception_fp_ieee_div_zero 0
		.amdhsa_exception_fp_ieee_overflow 0
		.amdhsa_exception_fp_ieee_underflow 0
		.amdhsa_exception_fp_ieee_inexact 0
		.amdhsa_exception_int_div_zero 0
	.end_amdhsa_kernel
	.section	.text._ZN7rocprim17ROCPRIM_400000_NS6detail31init_lookback_scan_state_kernelINS1_19lookback_scan_stateIjLb0ELb1EEENS1_16block_id_wrapperIjLb0EEEEEvT_jT0_jPNS7_10value_typeE,"axG",@progbits,_ZN7rocprim17ROCPRIM_400000_NS6detail31init_lookback_scan_state_kernelINS1_19lookback_scan_stateIjLb0ELb1EEENS1_16block_id_wrapperIjLb0EEEEEvT_jT0_jPNS7_10value_typeE,comdat
.Lfunc_end93:
	.size	_ZN7rocprim17ROCPRIM_400000_NS6detail31init_lookback_scan_state_kernelINS1_19lookback_scan_stateIjLb0ELb1EEENS1_16block_id_wrapperIjLb0EEEEEvT_jT0_jPNS7_10value_typeE, .Lfunc_end93-_ZN7rocprim17ROCPRIM_400000_NS6detail31init_lookback_scan_state_kernelINS1_19lookback_scan_stateIjLb0ELb1EEENS1_16block_id_wrapperIjLb0EEEEEvT_jT0_jPNS7_10value_typeE
                                        ; -- End function
	.section	.AMDGPU.csdata,"",@progbits
; Kernel info:
; codeLenInByte = 300
; NumSgprs: 15
; NumVgprs: 6
; NumAgprs: 0
; TotalNumVgprs: 6
; ScratchSize: 0
; MemoryBound: 0
; FloatMode: 240
; IeeeMode: 1
; LDSByteSize: 0 bytes/workgroup (compile time only)
; SGPRBlocks: 1
; VGPRBlocks: 0
; NumSGPRsForWavesPerEU: 15
; NumVGPRsForWavesPerEU: 6
; AccumOffset: 8
; Occupancy: 8
; WaveLimiterHint : 0
; COMPUTE_PGM_RSRC2:SCRATCH_EN: 0
; COMPUTE_PGM_RSRC2:USER_SGPR: 2
; COMPUTE_PGM_RSRC2:TRAP_HANDLER: 0
; COMPUTE_PGM_RSRC2:TGID_X_EN: 1
; COMPUTE_PGM_RSRC2:TGID_Y_EN: 0
; COMPUTE_PGM_RSRC2:TGID_Z_EN: 0
; COMPUTE_PGM_RSRC2:TIDIG_COMP_CNT: 0
; COMPUTE_PGM_RSRC3_GFX90A:ACCUM_OFFSET: 1
; COMPUTE_PGM_RSRC3_GFX90A:TG_SPLIT: 0
	.section	.text._ZN7rocprim17ROCPRIM_400000_NS6detail17trampoline_kernelINS0_14default_configENS1_25partition_config_selectorILNS1_17partition_subalgoE8EN6thrust23THRUST_200600_302600_NS5tupleIffNS7_9null_typeES9_S9_S9_S9_S9_S9_S9_EENS0_10empty_typeEbEEZZNS1_14partition_implILS5_8ELb0ES3_jNS7_6detail15normal_iteratorINS7_10device_ptrISA_EEEEPSB_PKSB_NS0_5tupleIJSI_SB_EEENSM_IJSJ_SJ_EEENS0_18inequality_wrapperINS7_8equal_toISA_EEEEPmJSB_EEE10hipError_tPvRmT3_T4_T5_T6_T7_T9_mT8_P12ihipStream_tbDpT10_ENKUlT_T0_E_clISt17integral_constantIbLb0EES1D_EEDaS18_S19_EUlS18_E_NS1_11comp_targetILNS1_3genE0ELNS1_11target_archE4294967295ELNS1_3gpuE0ELNS1_3repE0EEENS1_30default_config_static_selectorELNS0_4arch9wavefront6targetE1EEEvT1_,"axG",@progbits,_ZN7rocprim17ROCPRIM_400000_NS6detail17trampoline_kernelINS0_14default_configENS1_25partition_config_selectorILNS1_17partition_subalgoE8EN6thrust23THRUST_200600_302600_NS5tupleIffNS7_9null_typeES9_S9_S9_S9_S9_S9_S9_EENS0_10empty_typeEbEEZZNS1_14partition_implILS5_8ELb0ES3_jNS7_6detail15normal_iteratorINS7_10device_ptrISA_EEEEPSB_PKSB_NS0_5tupleIJSI_SB_EEENSM_IJSJ_SJ_EEENS0_18inequality_wrapperINS7_8equal_toISA_EEEEPmJSB_EEE10hipError_tPvRmT3_T4_T5_T6_T7_T9_mT8_P12ihipStream_tbDpT10_ENKUlT_T0_E_clISt17integral_constantIbLb0EES1D_EEDaS18_S19_EUlS18_E_NS1_11comp_targetILNS1_3genE0ELNS1_11target_archE4294967295ELNS1_3gpuE0ELNS1_3repE0EEENS1_30default_config_static_selectorELNS0_4arch9wavefront6targetE1EEEvT1_,comdat
	.protected	_ZN7rocprim17ROCPRIM_400000_NS6detail17trampoline_kernelINS0_14default_configENS1_25partition_config_selectorILNS1_17partition_subalgoE8EN6thrust23THRUST_200600_302600_NS5tupleIffNS7_9null_typeES9_S9_S9_S9_S9_S9_S9_EENS0_10empty_typeEbEEZZNS1_14partition_implILS5_8ELb0ES3_jNS7_6detail15normal_iteratorINS7_10device_ptrISA_EEEEPSB_PKSB_NS0_5tupleIJSI_SB_EEENSM_IJSJ_SJ_EEENS0_18inequality_wrapperINS7_8equal_toISA_EEEEPmJSB_EEE10hipError_tPvRmT3_T4_T5_T6_T7_T9_mT8_P12ihipStream_tbDpT10_ENKUlT_T0_E_clISt17integral_constantIbLb0EES1D_EEDaS18_S19_EUlS18_E_NS1_11comp_targetILNS1_3genE0ELNS1_11target_archE4294967295ELNS1_3gpuE0ELNS1_3repE0EEENS1_30default_config_static_selectorELNS0_4arch9wavefront6targetE1EEEvT1_ ; -- Begin function _ZN7rocprim17ROCPRIM_400000_NS6detail17trampoline_kernelINS0_14default_configENS1_25partition_config_selectorILNS1_17partition_subalgoE8EN6thrust23THRUST_200600_302600_NS5tupleIffNS7_9null_typeES9_S9_S9_S9_S9_S9_S9_EENS0_10empty_typeEbEEZZNS1_14partition_implILS5_8ELb0ES3_jNS7_6detail15normal_iteratorINS7_10device_ptrISA_EEEEPSB_PKSB_NS0_5tupleIJSI_SB_EEENSM_IJSJ_SJ_EEENS0_18inequality_wrapperINS7_8equal_toISA_EEEEPmJSB_EEE10hipError_tPvRmT3_T4_T5_T6_T7_T9_mT8_P12ihipStream_tbDpT10_ENKUlT_T0_E_clISt17integral_constantIbLb0EES1D_EEDaS18_S19_EUlS18_E_NS1_11comp_targetILNS1_3genE0ELNS1_11target_archE4294967295ELNS1_3gpuE0ELNS1_3repE0EEENS1_30default_config_static_selectorELNS0_4arch9wavefront6targetE1EEEvT1_
	.globl	_ZN7rocprim17ROCPRIM_400000_NS6detail17trampoline_kernelINS0_14default_configENS1_25partition_config_selectorILNS1_17partition_subalgoE8EN6thrust23THRUST_200600_302600_NS5tupleIffNS7_9null_typeES9_S9_S9_S9_S9_S9_S9_EENS0_10empty_typeEbEEZZNS1_14partition_implILS5_8ELb0ES3_jNS7_6detail15normal_iteratorINS7_10device_ptrISA_EEEEPSB_PKSB_NS0_5tupleIJSI_SB_EEENSM_IJSJ_SJ_EEENS0_18inequality_wrapperINS7_8equal_toISA_EEEEPmJSB_EEE10hipError_tPvRmT3_T4_T5_T6_T7_T9_mT8_P12ihipStream_tbDpT10_ENKUlT_T0_E_clISt17integral_constantIbLb0EES1D_EEDaS18_S19_EUlS18_E_NS1_11comp_targetILNS1_3genE0ELNS1_11target_archE4294967295ELNS1_3gpuE0ELNS1_3repE0EEENS1_30default_config_static_selectorELNS0_4arch9wavefront6targetE1EEEvT1_
	.p2align	8
	.type	_ZN7rocprim17ROCPRIM_400000_NS6detail17trampoline_kernelINS0_14default_configENS1_25partition_config_selectorILNS1_17partition_subalgoE8EN6thrust23THRUST_200600_302600_NS5tupleIffNS7_9null_typeES9_S9_S9_S9_S9_S9_S9_EENS0_10empty_typeEbEEZZNS1_14partition_implILS5_8ELb0ES3_jNS7_6detail15normal_iteratorINS7_10device_ptrISA_EEEEPSB_PKSB_NS0_5tupleIJSI_SB_EEENSM_IJSJ_SJ_EEENS0_18inequality_wrapperINS7_8equal_toISA_EEEEPmJSB_EEE10hipError_tPvRmT3_T4_T5_T6_T7_T9_mT8_P12ihipStream_tbDpT10_ENKUlT_T0_E_clISt17integral_constantIbLb0EES1D_EEDaS18_S19_EUlS18_E_NS1_11comp_targetILNS1_3genE0ELNS1_11target_archE4294967295ELNS1_3gpuE0ELNS1_3repE0EEENS1_30default_config_static_selectorELNS0_4arch9wavefront6targetE1EEEvT1_,@function
_ZN7rocprim17ROCPRIM_400000_NS6detail17trampoline_kernelINS0_14default_configENS1_25partition_config_selectorILNS1_17partition_subalgoE8EN6thrust23THRUST_200600_302600_NS5tupleIffNS7_9null_typeES9_S9_S9_S9_S9_S9_S9_EENS0_10empty_typeEbEEZZNS1_14partition_implILS5_8ELb0ES3_jNS7_6detail15normal_iteratorINS7_10device_ptrISA_EEEEPSB_PKSB_NS0_5tupleIJSI_SB_EEENSM_IJSJ_SJ_EEENS0_18inequality_wrapperINS7_8equal_toISA_EEEEPmJSB_EEE10hipError_tPvRmT3_T4_T5_T6_T7_T9_mT8_P12ihipStream_tbDpT10_ENKUlT_T0_E_clISt17integral_constantIbLb0EES1D_EEDaS18_S19_EUlS18_E_NS1_11comp_targetILNS1_3genE0ELNS1_11target_archE4294967295ELNS1_3gpuE0ELNS1_3repE0EEENS1_30default_config_static_selectorELNS0_4arch9wavefront6targetE1EEEvT1_: ; @_ZN7rocprim17ROCPRIM_400000_NS6detail17trampoline_kernelINS0_14default_configENS1_25partition_config_selectorILNS1_17partition_subalgoE8EN6thrust23THRUST_200600_302600_NS5tupleIffNS7_9null_typeES9_S9_S9_S9_S9_S9_S9_EENS0_10empty_typeEbEEZZNS1_14partition_implILS5_8ELb0ES3_jNS7_6detail15normal_iteratorINS7_10device_ptrISA_EEEEPSB_PKSB_NS0_5tupleIJSI_SB_EEENSM_IJSJ_SJ_EEENS0_18inequality_wrapperINS7_8equal_toISA_EEEEPmJSB_EEE10hipError_tPvRmT3_T4_T5_T6_T7_T9_mT8_P12ihipStream_tbDpT10_ENKUlT_T0_E_clISt17integral_constantIbLb0EES1D_EEDaS18_S19_EUlS18_E_NS1_11comp_targetILNS1_3genE0ELNS1_11target_archE4294967295ELNS1_3gpuE0ELNS1_3repE0EEENS1_30default_config_static_selectorELNS0_4arch9wavefront6targetE1EEEvT1_
; %bb.0:
	.section	.rodata,"a",@progbits
	.p2align	6, 0x0
	.amdhsa_kernel _ZN7rocprim17ROCPRIM_400000_NS6detail17trampoline_kernelINS0_14default_configENS1_25partition_config_selectorILNS1_17partition_subalgoE8EN6thrust23THRUST_200600_302600_NS5tupleIffNS7_9null_typeES9_S9_S9_S9_S9_S9_S9_EENS0_10empty_typeEbEEZZNS1_14partition_implILS5_8ELb0ES3_jNS7_6detail15normal_iteratorINS7_10device_ptrISA_EEEEPSB_PKSB_NS0_5tupleIJSI_SB_EEENSM_IJSJ_SJ_EEENS0_18inequality_wrapperINS7_8equal_toISA_EEEEPmJSB_EEE10hipError_tPvRmT3_T4_T5_T6_T7_T9_mT8_P12ihipStream_tbDpT10_ENKUlT_T0_E_clISt17integral_constantIbLb0EES1D_EEDaS18_S19_EUlS18_E_NS1_11comp_targetILNS1_3genE0ELNS1_11target_archE4294967295ELNS1_3gpuE0ELNS1_3repE0EEENS1_30default_config_static_selectorELNS0_4arch9wavefront6targetE1EEEvT1_
		.amdhsa_group_segment_fixed_size 0
		.amdhsa_private_segment_fixed_size 0
		.amdhsa_kernarg_size 112
		.amdhsa_user_sgpr_count 2
		.amdhsa_user_sgpr_dispatch_ptr 0
		.amdhsa_user_sgpr_queue_ptr 0
		.amdhsa_user_sgpr_kernarg_segment_ptr 1
		.amdhsa_user_sgpr_dispatch_id 0
		.amdhsa_user_sgpr_kernarg_preload_length 0
		.amdhsa_user_sgpr_kernarg_preload_offset 0
		.amdhsa_user_sgpr_private_segment_size 0
		.amdhsa_uses_dynamic_stack 0
		.amdhsa_enable_private_segment 0
		.amdhsa_system_sgpr_workgroup_id_x 1
		.amdhsa_system_sgpr_workgroup_id_y 0
		.amdhsa_system_sgpr_workgroup_id_z 0
		.amdhsa_system_sgpr_workgroup_info 0
		.amdhsa_system_vgpr_workitem_id 0
		.amdhsa_next_free_vgpr 1
		.amdhsa_next_free_sgpr 0
		.amdhsa_accum_offset 4
		.amdhsa_reserve_vcc 0
		.amdhsa_float_round_mode_32 0
		.amdhsa_float_round_mode_16_64 0
		.amdhsa_float_denorm_mode_32 3
		.amdhsa_float_denorm_mode_16_64 3
		.amdhsa_dx10_clamp 1
		.amdhsa_ieee_mode 1
		.amdhsa_fp16_overflow 0
		.amdhsa_tg_split 0
		.amdhsa_exception_fp_ieee_invalid_op 0
		.amdhsa_exception_fp_denorm_src 0
		.amdhsa_exception_fp_ieee_div_zero 0
		.amdhsa_exception_fp_ieee_overflow 0
		.amdhsa_exception_fp_ieee_underflow 0
		.amdhsa_exception_fp_ieee_inexact 0
		.amdhsa_exception_int_div_zero 0
	.end_amdhsa_kernel
	.section	.text._ZN7rocprim17ROCPRIM_400000_NS6detail17trampoline_kernelINS0_14default_configENS1_25partition_config_selectorILNS1_17partition_subalgoE8EN6thrust23THRUST_200600_302600_NS5tupleIffNS7_9null_typeES9_S9_S9_S9_S9_S9_S9_EENS0_10empty_typeEbEEZZNS1_14partition_implILS5_8ELb0ES3_jNS7_6detail15normal_iteratorINS7_10device_ptrISA_EEEEPSB_PKSB_NS0_5tupleIJSI_SB_EEENSM_IJSJ_SJ_EEENS0_18inequality_wrapperINS7_8equal_toISA_EEEEPmJSB_EEE10hipError_tPvRmT3_T4_T5_T6_T7_T9_mT8_P12ihipStream_tbDpT10_ENKUlT_T0_E_clISt17integral_constantIbLb0EES1D_EEDaS18_S19_EUlS18_E_NS1_11comp_targetILNS1_3genE0ELNS1_11target_archE4294967295ELNS1_3gpuE0ELNS1_3repE0EEENS1_30default_config_static_selectorELNS0_4arch9wavefront6targetE1EEEvT1_,"axG",@progbits,_ZN7rocprim17ROCPRIM_400000_NS6detail17trampoline_kernelINS0_14default_configENS1_25partition_config_selectorILNS1_17partition_subalgoE8EN6thrust23THRUST_200600_302600_NS5tupleIffNS7_9null_typeES9_S9_S9_S9_S9_S9_S9_EENS0_10empty_typeEbEEZZNS1_14partition_implILS5_8ELb0ES3_jNS7_6detail15normal_iteratorINS7_10device_ptrISA_EEEEPSB_PKSB_NS0_5tupleIJSI_SB_EEENSM_IJSJ_SJ_EEENS0_18inequality_wrapperINS7_8equal_toISA_EEEEPmJSB_EEE10hipError_tPvRmT3_T4_T5_T6_T7_T9_mT8_P12ihipStream_tbDpT10_ENKUlT_T0_E_clISt17integral_constantIbLb0EES1D_EEDaS18_S19_EUlS18_E_NS1_11comp_targetILNS1_3genE0ELNS1_11target_archE4294967295ELNS1_3gpuE0ELNS1_3repE0EEENS1_30default_config_static_selectorELNS0_4arch9wavefront6targetE1EEEvT1_,comdat
.Lfunc_end94:
	.size	_ZN7rocprim17ROCPRIM_400000_NS6detail17trampoline_kernelINS0_14default_configENS1_25partition_config_selectorILNS1_17partition_subalgoE8EN6thrust23THRUST_200600_302600_NS5tupleIffNS7_9null_typeES9_S9_S9_S9_S9_S9_S9_EENS0_10empty_typeEbEEZZNS1_14partition_implILS5_8ELb0ES3_jNS7_6detail15normal_iteratorINS7_10device_ptrISA_EEEEPSB_PKSB_NS0_5tupleIJSI_SB_EEENSM_IJSJ_SJ_EEENS0_18inequality_wrapperINS7_8equal_toISA_EEEEPmJSB_EEE10hipError_tPvRmT3_T4_T5_T6_T7_T9_mT8_P12ihipStream_tbDpT10_ENKUlT_T0_E_clISt17integral_constantIbLb0EES1D_EEDaS18_S19_EUlS18_E_NS1_11comp_targetILNS1_3genE0ELNS1_11target_archE4294967295ELNS1_3gpuE0ELNS1_3repE0EEENS1_30default_config_static_selectorELNS0_4arch9wavefront6targetE1EEEvT1_, .Lfunc_end94-_ZN7rocprim17ROCPRIM_400000_NS6detail17trampoline_kernelINS0_14default_configENS1_25partition_config_selectorILNS1_17partition_subalgoE8EN6thrust23THRUST_200600_302600_NS5tupleIffNS7_9null_typeES9_S9_S9_S9_S9_S9_S9_EENS0_10empty_typeEbEEZZNS1_14partition_implILS5_8ELb0ES3_jNS7_6detail15normal_iteratorINS7_10device_ptrISA_EEEEPSB_PKSB_NS0_5tupleIJSI_SB_EEENSM_IJSJ_SJ_EEENS0_18inequality_wrapperINS7_8equal_toISA_EEEEPmJSB_EEE10hipError_tPvRmT3_T4_T5_T6_T7_T9_mT8_P12ihipStream_tbDpT10_ENKUlT_T0_E_clISt17integral_constantIbLb0EES1D_EEDaS18_S19_EUlS18_E_NS1_11comp_targetILNS1_3genE0ELNS1_11target_archE4294967295ELNS1_3gpuE0ELNS1_3repE0EEENS1_30default_config_static_selectorELNS0_4arch9wavefront6targetE1EEEvT1_
                                        ; -- End function
	.section	.AMDGPU.csdata,"",@progbits
; Kernel info:
; codeLenInByte = 0
; NumSgprs: 6
; NumVgprs: 0
; NumAgprs: 0
; TotalNumVgprs: 0
; ScratchSize: 0
; MemoryBound: 0
; FloatMode: 240
; IeeeMode: 1
; LDSByteSize: 0 bytes/workgroup (compile time only)
; SGPRBlocks: 0
; VGPRBlocks: 0
; NumSGPRsForWavesPerEU: 6
; NumVGPRsForWavesPerEU: 1
; AccumOffset: 4
; Occupancy: 8
; WaveLimiterHint : 0
; COMPUTE_PGM_RSRC2:SCRATCH_EN: 0
; COMPUTE_PGM_RSRC2:USER_SGPR: 2
; COMPUTE_PGM_RSRC2:TRAP_HANDLER: 0
; COMPUTE_PGM_RSRC2:TGID_X_EN: 1
; COMPUTE_PGM_RSRC2:TGID_Y_EN: 0
; COMPUTE_PGM_RSRC2:TGID_Z_EN: 0
; COMPUTE_PGM_RSRC2:TIDIG_COMP_CNT: 0
; COMPUTE_PGM_RSRC3_GFX90A:ACCUM_OFFSET: 0
; COMPUTE_PGM_RSRC3_GFX90A:TG_SPLIT: 0
	.section	.text._ZN7rocprim17ROCPRIM_400000_NS6detail17trampoline_kernelINS0_14default_configENS1_25partition_config_selectorILNS1_17partition_subalgoE8EN6thrust23THRUST_200600_302600_NS5tupleIffNS7_9null_typeES9_S9_S9_S9_S9_S9_S9_EENS0_10empty_typeEbEEZZNS1_14partition_implILS5_8ELb0ES3_jNS7_6detail15normal_iteratorINS7_10device_ptrISA_EEEEPSB_PKSB_NS0_5tupleIJSI_SB_EEENSM_IJSJ_SJ_EEENS0_18inequality_wrapperINS7_8equal_toISA_EEEEPmJSB_EEE10hipError_tPvRmT3_T4_T5_T6_T7_T9_mT8_P12ihipStream_tbDpT10_ENKUlT_T0_E_clISt17integral_constantIbLb0EES1D_EEDaS18_S19_EUlS18_E_NS1_11comp_targetILNS1_3genE5ELNS1_11target_archE942ELNS1_3gpuE9ELNS1_3repE0EEENS1_30default_config_static_selectorELNS0_4arch9wavefront6targetE1EEEvT1_,"axG",@progbits,_ZN7rocprim17ROCPRIM_400000_NS6detail17trampoline_kernelINS0_14default_configENS1_25partition_config_selectorILNS1_17partition_subalgoE8EN6thrust23THRUST_200600_302600_NS5tupleIffNS7_9null_typeES9_S9_S9_S9_S9_S9_S9_EENS0_10empty_typeEbEEZZNS1_14partition_implILS5_8ELb0ES3_jNS7_6detail15normal_iteratorINS7_10device_ptrISA_EEEEPSB_PKSB_NS0_5tupleIJSI_SB_EEENSM_IJSJ_SJ_EEENS0_18inequality_wrapperINS7_8equal_toISA_EEEEPmJSB_EEE10hipError_tPvRmT3_T4_T5_T6_T7_T9_mT8_P12ihipStream_tbDpT10_ENKUlT_T0_E_clISt17integral_constantIbLb0EES1D_EEDaS18_S19_EUlS18_E_NS1_11comp_targetILNS1_3genE5ELNS1_11target_archE942ELNS1_3gpuE9ELNS1_3repE0EEENS1_30default_config_static_selectorELNS0_4arch9wavefront6targetE1EEEvT1_,comdat
	.protected	_ZN7rocprim17ROCPRIM_400000_NS6detail17trampoline_kernelINS0_14default_configENS1_25partition_config_selectorILNS1_17partition_subalgoE8EN6thrust23THRUST_200600_302600_NS5tupleIffNS7_9null_typeES9_S9_S9_S9_S9_S9_S9_EENS0_10empty_typeEbEEZZNS1_14partition_implILS5_8ELb0ES3_jNS7_6detail15normal_iteratorINS7_10device_ptrISA_EEEEPSB_PKSB_NS0_5tupleIJSI_SB_EEENSM_IJSJ_SJ_EEENS0_18inequality_wrapperINS7_8equal_toISA_EEEEPmJSB_EEE10hipError_tPvRmT3_T4_T5_T6_T7_T9_mT8_P12ihipStream_tbDpT10_ENKUlT_T0_E_clISt17integral_constantIbLb0EES1D_EEDaS18_S19_EUlS18_E_NS1_11comp_targetILNS1_3genE5ELNS1_11target_archE942ELNS1_3gpuE9ELNS1_3repE0EEENS1_30default_config_static_selectorELNS0_4arch9wavefront6targetE1EEEvT1_ ; -- Begin function _ZN7rocprim17ROCPRIM_400000_NS6detail17trampoline_kernelINS0_14default_configENS1_25partition_config_selectorILNS1_17partition_subalgoE8EN6thrust23THRUST_200600_302600_NS5tupleIffNS7_9null_typeES9_S9_S9_S9_S9_S9_S9_EENS0_10empty_typeEbEEZZNS1_14partition_implILS5_8ELb0ES3_jNS7_6detail15normal_iteratorINS7_10device_ptrISA_EEEEPSB_PKSB_NS0_5tupleIJSI_SB_EEENSM_IJSJ_SJ_EEENS0_18inequality_wrapperINS7_8equal_toISA_EEEEPmJSB_EEE10hipError_tPvRmT3_T4_T5_T6_T7_T9_mT8_P12ihipStream_tbDpT10_ENKUlT_T0_E_clISt17integral_constantIbLb0EES1D_EEDaS18_S19_EUlS18_E_NS1_11comp_targetILNS1_3genE5ELNS1_11target_archE942ELNS1_3gpuE9ELNS1_3repE0EEENS1_30default_config_static_selectorELNS0_4arch9wavefront6targetE1EEEvT1_
	.globl	_ZN7rocprim17ROCPRIM_400000_NS6detail17trampoline_kernelINS0_14default_configENS1_25partition_config_selectorILNS1_17partition_subalgoE8EN6thrust23THRUST_200600_302600_NS5tupleIffNS7_9null_typeES9_S9_S9_S9_S9_S9_S9_EENS0_10empty_typeEbEEZZNS1_14partition_implILS5_8ELb0ES3_jNS7_6detail15normal_iteratorINS7_10device_ptrISA_EEEEPSB_PKSB_NS0_5tupleIJSI_SB_EEENSM_IJSJ_SJ_EEENS0_18inequality_wrapperINS7_8equal_toISA_EEEEPmJSB_EEE10hipError_tPvRmT3_T4_T5_T6_T7_T9_mT8_P12ihipStream_tbDpT10_ENKUlT_T0_E_clISt17integral_constantIbLb0EES1D_EEDaS18_S19_EUlS18_E_NS1_11comp_targetILNS1_3genE5ELNS1_11target_archE942ELNS1_3gpuE9ELNS1_3repE0EEENS1_30default_config_static_selectorELNS0_4arch9wavefront6targetE1EEEvT1_
	.p2align	8
	.type	_ZN7rocprim17ROCPRIM_400000_NS6detail17trampoline_kernelINS0_14default_configENS1_25partition_config_selectorILNS1_17partition_subalgoE8EN6thrust23THRUST_200600_302600_NS5tupleIffNS7_9null_typeES9_S9_S9_S9_S9_S9_S9_EENS0_10empty_typeEbEEZZNS1_14partition_implILS5_8ELb0ES3_jNS7_6detail15normal_iteratorINS7_10device_ptrISA_EEEEPSB_PKSB_NS0_5tupleIJSI_SB_EEENSM_IJSJ_SJ_EEENS0_18inequality_wrapperINS7_8equal_toISA_EEEEPmJSB_EEE10hipError_tPvRmT3_T4_T5_T6_T7_T9_mT8_P12ihipStream_tbDpT10_ENKUlT_T0_E_clISt17integral_constantIbLb0EES1D_EEDaS18_S19_EUlS18_E_NS1_11comp_targetILNS1_3genE5ELNS1_11target_archE942ELNS1_3gpuE9ELNS1_3repE0EEENS1_30default_config_static_selectorELNS0_4arch9wavefront6targetE1EEEvT1_,@function
_ZN7rocprim17ROCPRIM_400000_NS6detail17trampoline_kernelINS0_14default_configENS1_25partition_config_selectorILNS1_17partition_subalgoE8EN6thrust23THRUST_200600_302600_NS5tupleIffNS7_9null_typeES9_S9_S9_S9_S9_S9_S9_EENS0_10empty_typeEbEEZZNS1_14partition_implILS5_8ELb0ES3_jNS7_6detail15normal_iteratorINS7_10device_ptrISA_EEEEPSB_PKSB_NS0_5tupleIJSI_SB_EEENSM_IJSJ_SJ_EEENS0_18inequality_wrapperINS7_8equal_toISA_EEEEPmJSB_EEE10hipError_tPvRmT3_T4_T5_T6_T7_T9_mT8_P12ihipStream_tbDpT10_ENKUlT_T0_E_clISt17integral_constantIbLb0EES1D_EEDaS18_S19_EUlS18_E_NS1_11comp_targetILNS1_3genE5ELNS1_11target_archE942ELNS1_3gpuE9ELNS1_3repE0EEENS1_30default_config_static_selectorELNS0_4arch9wavefront6targetE1EEEvT1_: ; @_ZN7rocprim17ROCPRIM_400000_NS6detail17trampoline_kernelINS0_14default_configENS1_25partition_config_selectorILNS1_17partition_subalgoE8EN6thrust23THRUST_200600_302600_NS5tupleIffNS7_9null_typeES9_S9_S9_S9_S9_S9_S9_EENS0_10empty_typeEbEEZZNS1_14partition_implILS5_8ELb0ES3_jNS7_6detail15normal_iteratorINS7_10device_ptrISA_EEEEPSB_PKSB_NS0_5tupleIJSI_SB_EEENSM_IJSJ_SJ_EEENS0_18inequality_wrapperINS7_8equal_toISA_EEEEPmJSB_EEE10hipError_tPvRmT3_T4_T5_T6_T7_T9_mT8_P12ihipStream_tbDpT10_ENKUlT_T0_E_clISt17integral_constantIbLb0EES1D_EEDaS18_S19_EUlS18_E_NS1_11comp_targetILNS1_3genE5ELNS1_11target_archE942ELNS1_3gpuE9ELNS1_3repE0EEENS1_30default_config_static_selectorELNS0_4arch9wavefront6targetE1EEEvT1_
; %bb.0:
	s_load_dwordx2 s[8:9], s[0:1], 0x50
	s_load_dwordx4 s[4:7], s[0:1], 0x8
	s_load_dwordx4 s[28:31], s[0:1], 0x40
	s_load_dword s3, s[0:1], 0x68
	s_waitcnt lgkmcnt(0)
	v_mov_b32_e32 v3, s9
	s_lshl_b64 s[10:11], s[6:7], 3
	s_add_u32 s10, s4, s10
	s_mul_i32 s9, s3, 0xe00
	s_addc_u32 s11, s5, s11
	s_add_i32 s4, s3, -1
	s_add_i32 s3, s9, s6
	s_sub_i32 s3, s8, s3
	v_mov_b32_e32 v2, s8
	s_add_u32 s8, s6, s9
	s_addc_u32 s9, s7, 0
	s_cmp_eq_u32 s2, s4
	s_load_dwordx2 s[30:31], s[30:31], 0x0
	s_cselect_b64 s[34:35], -1, 0
	v_cmp_ge_u64_e32 vcc, s[8:9], v[2:3]
	s_mov_b32 s5, 0
	s_mul_i32 s4, s2, 0xe00
	s_and_b64 s[38:39], s[34:35], vcc
	s_xor_b64 s[36:37], s[38:39], -1
	s_lshl_b64 s[4:5], s[4:5], 3
	s_add_u32 s4, s10, s4
	s_mov_b64 s[8:9], -1
	s_addc_u32 s5, s11, s5
	s_and_b64 vcc, exec, s[36:37]
	s_cbranch_vccz .LBB95_2
; %bb.1:
	v_lshlrev_b32_e32 v2, 3, v0
	v_mov_b32_e32 v3, 0
	v_lshl_add_u64 v[4:5], s[4:5], 0, v[2:3]
	v_add_co_u32_e32 v6, vcc, 0x1000, v4
	s_mov_b64 s[8:9], 0
	s_nop 0
	v_addc_co_u32_e32 v7, vcc, 0, v5, vcc
	v_add_co_u32_e32 v8, vcc, 0x2000, v4
	s_nop 1
	v_addc_co_u32_e32 v9, vcc, 0, v5, vcc
	v_add_co_u32_e32 v10, vcc, 0x3000, v4
	s_nop 1
	v_addc_co_u32_e32 v11, vcc, 0, v5, vcc
	flat_load_dwordx2 v[12:13], v[4:5]
	flat_load_dwordx2 v[14:15], v[6:7]
	;; [unrolled: 1-line block ×4, first 2 shown]
	v_add_co_u32_e32 v6, vcc, 0x4000, v4
	s_nop 1
	v_addc_co_u32_e32 v7, vcc, 0, v5, vcc
	v_add_co_u32_e32 v8, vcc, 0x5000, v4
	s_nop 1
	v_addc_co_u32_e32 v9, vcc, 0, v5, vcc
	;; [unrolled: 3-line block ×3, first 2 shown]
	flat_load_dwordx2 v[10:11], v[6:7]
	flat_load_dwordx2 v[20:21], v[8:9]
	;; [unrolled: 1-line block ×3, first 2 shown]
	s_waitcnt vmcnt(0) lgkmcnt(0)
	ds_write2st64_b64 v2, v[12:13], v[14:15] offset1:8
	ds_write2st64_b64 v2, v[16:17], v[18:19] offset0:16 offset1:24
	ds_write2st64_b64 v2, v[10:11], v[20:21] offset0:32 offset1:40
	ds_write_b64 v2, v[22:23] offset:24576
	s_waitcnt lgkmcnt(0)
	s_barrier
.LBB95_2:
	s_andn2_b64 vcc, exec, s[8:9]
	s_addk_i32 s3, 0xe00
	s_cbranch_vccnz .LBB95_18
; %bb.3:
	v_cmp_gt_u32_e32 vcc, s3, v0
	v_mov_b32_e32 v2, 0
	v_mov_b32_e32 v4, 0
	v_mov_b32_e32 v5, 0
	s_and_saveexec_b64 s[8:9], vcc
	s_cbranch_execz .LBB95_5
; %bb.4:
	v_lshlrev_b32_e32 v4, 3, v0
	v_mov_b32_e32 v5, 0
	v_lshl_add_u64 v[4:5], s[4:5], 0, v[4:5]
	flat_load_dwordx2 v[4:5], v[4:5]
.LBB95_5:
	s_or_b64 exec, exec, s[8:9]
	v_or_b32_e32 v1, 0x200, v0
	v_cmp_gt_u32_e32 vcc, s3, v1
	v_mov_b32_e32 v3, 0
	s_and_saveexec_b64 s[8:9], vcc
	s_cbranch_execz .LBB95_7
; %bb.6:
	v_lshlrev_b32_e32 v2, 3, v1
	v_mov_b32_e32 v3, 0
	v_lshl_add_u64 v[2:3], s[4:5], 0, v[2:3]
	flat_load_dwordx2 v[2:3], v[2:3]
.LBB95_7:
	s_or_b64 exec, exec, s[8:9]
	v_or_b32_e32 v1, 0x400, v0
	v_cmp_gt_u32_e32 vcc, s3, v1
	v_mov_b32_e32 v6, 0
	v_mov_b32_e32 v8, 0
	v_mov_b32_e32 v9, 0
	s_and_saveexec_b64 s[8:9], vcc
	s_cbranch_execz .LBB95_9
; %bb.8:
	v_lshlrev_b32_e32 v8, 3, v1
	v_mov_b32_e32 v9, 0
	v_lshl_add_u64 v[8:9], s[4:5], 0, v[8:9]
	flat_load_dwordx2 v[8:9], v[8:9]
.LBB95_9:
	s_or_b64 exec, exec, s[8:9]
	v_or_b32_e32 v1, 0x600, v0
	v_cmp_gt_u32_e32 vcc, s3, v1
	v_mov_b32_e32 v7, 0
	s_and_saveexec_b64 s[8:9], vcc
	s_cbranch_execz .LBB95_11
; %bb.10:
	v_lshlrev_b32_e32 v6, 3, v1
	v_mov_b32_e32 v7, 0
	v_lshl_add_u64 v[6:7], s[4:5], 0, v[6:7]
	flat_load_dwordx2 v[6:7], v[6:7]
.LBB95_11:
	s_or_b64 exec, exec, s[8:9]
	v_or_b32_e32 v1, 0x800, v0
	;; [unrolled: 26-line block ×3, first 2 shown]
	v_cmp_gt_u32_e32 vcc, s3, v1
	v_mov_b32_e32 v14, 0
	v_mov_b32_e32 v15, 0
	s_and_saveexec_b64 s[8:9], vcc
	s_cbranch_execz .LBB95_17
; %bb.16:
	v_lshlrev_b32_e32 v14, 3, v1
	v_mov_b32_e32 v15, 0
	v_lshl_add_u64 v[14:15], s[4:5], 0, v[14:15]
	flat_load_dwordx2 v[14:15], v[14:15]
.LBB95_17:
	s_or_b64 exec, exec, s[8:9]
	v_lshlrev_b32_e32 v1, 3, v0
	s_waitcnt vmcnt(0) lgkmcnt(0)
	ds_write2st64_b64 v1, v[4:5], v[2:3] offset1:8
	ds_write2st64_b64 v1, v[8:9], v[6:7] offset0:16 offset1:24
	ds_write2st64_b64 v1, v[12:13], v[10:11] offset0:32 offset1:40
	ds_write_b64 v1, v[14:15] offset:24576
	s_waitcnt lgkmcnt(0)
	s_barrier
.LBB95_18:
	v_mul_u32_u24_e32 v20, 7, v0
	v_lshlrev_b32_e32 v1, 3, v20
	s_waitcnt lgkmcnt(0)
	ds_read2_b64 v[10:13], v1 offset1:1
	ds_read2_b64 v[6:9], v1 offset0:2 offset1:3
	ds_read2_b64 v[2:5], v1 offset0:4 offset1:5
	ds_read_b64 v[14:15], v1 offset:48
	s_cmp_lg_u32 s2, 0
	s_cselect_b64 s[40:41], -1, 0
	s_cmp_lg_u64 s[6:7], 0
	s_cselect_b64 s[6:7], -1, 0
	s_or_b64 s[6:7], s[40:41], s[6:7]
	v_mad_u32_u24 v22, v0, 7, 1
	v_mad_u32_u24 v21, v0, 7, 2
	;; [unrolled: 1-line block ×6, first 2 shown]
	s_mov_b64 s[42:43], 0
	s_and_b64 vcc, exec, s[6:7]
	s_waitcnt lgkmcnt(0)
	s_barrier
	s_cbranch_vccz .LBB95_23
; %bb.19:
	v_mov_b32_e32 v17, s5
	v_add_co_u32_e64 v16, vcc, -8, s4
	v_lshlrev_b32_e32 v30, 3, v0
	s_nop 0
	v_addc_co_u32_e32 v17, vcc, -1, v17, vcc
	flat_load_dwordx2 v[16:17], v[16:17]
	s_and_b64 vcc, exec, s[36:37]
	ds_write_b64 v30, v[14:15]
	s_cbranch_vccz .LBB95_25
; %bb.20:
	v_cmp_ne_u32_e32 vcc, 0, v0
	s_waitcnt vmcnt(0) lgkmcnt(0)
	v_mov_b64_e32 v[18:19], v[16:17]
	s_barrier
	s_and_saveexec_b64 s[4:5], vcc
	s_cbranch_execz .LBB95_22
; %bb.21:
	v_add_u32_e32 v18, -8, v30
	ds_read_b64 v[18:19], v18
.LBB95_22:
	s_or_b64 exec, exec, s[4:5]
	v_cmp_neq_f32_e32 vcc, v4, v14
	v_cmp_neq_f32_e64 s[4:5], v5, v15
	s_or_b64 s[4:5], vcc, s[4:5]
	v_cmp_neq_f32_e32 vcc, v2, v4
	v_cndmask_b32_e64 v29, 0, 1, s[4:5]
	v_cmp_neq_f32_e64 s[4:5], v3, v5
	s_or_b64 s[4:5], vcc, s[4:5]
	v_cmp_neq_f32_e32 vcc, v8, v2
	v_cndmask_b32_e64 v27, 0, 1, s[4:5]
	;; [unrolled: 4-line block ×5, first 2 shown]
	v_cmp_neq_f32_e64 s[4:5], v11, v13
	s_or_b64 s[4:5], vcc, s[4:5]
	s_waitcnt lgkmcnt(0)
	v_cmp_neq_f32_e32 vcc, v18, v10
	v_cndmask_b32_e64 v33, 0, 1, s[4:5]
	v_lshlrev_b16_e32 v18, 8, v31
	v_cmp_neq_f32_e64 s[4:5], v19, v11
	v_or_b32_sdwa v18, v32, v18 dst_sel:WORD_1 dst_unused:UNUSED_PAD src0_sel:DWORD src1_sel:DWORD
	v_lshlrev_b16_e32 v19, 8, v33
	s_or_b64 s[4:5], vcc, s[4:5]
	v_or_b32_e32 v18, v19, v18
	s_branch .LBB95_29
.LBB95_23:
                                        ; implicit-def: $sgpr4_sgpr5
                                        ; implicit-def: $vgpr29
                                        ; implicit-def: $vgpr27
                                        ; implicit-def: $vgpr28
                                        ; implicit-def: $vgpr18
	s_branch .LBB95_30
.LBB95_24:
                                        ; implicit-def: $vgpr16_vgpr17
	s_and_saveexec_b64 s[6:7], s[42:43]
	s_cbranch_execnz .LBB95_38
	s_branch .LBB95_39
.LBB95_25:
                                        ; implicit-def: $sgpr4_sgpr5
                                        ; implicit-def: $vgpr29
                                        ; implicit-def: $vgpr27
                                        ; implicit-def: $vgpr28
                                        ; implicit-def: $vgpr18
	s_cbranch_execz .LBB95_29
; %bb.26:
	v_cmp_ne_u32_e32 vcc, 0, v0
	s_waitcnt lgkmcnt(0)
	s_barrier
	s_and_saveexec_b64 s[4:5], vcc
	s_cbranch_execz .LBB95_28
; %bb.27:
	s_waitcnt vmcnt(0)
	v_add_u32_e32 v16, -8, v30
	ds_read_b64 v[16:17], v16
.LBB95_28:
	s_or_b64 exec, exec, s[4:5]
	v_cmp_neq_f32_e64 s[4:5], v4, v14
	v_cmp_neq_f32_e64 s[6:7], v5, v15
	v_cmp_gt_u32_e32 vcc, s3, v24
	s_or_b64 s[4:5], s[4:5], s[6:7]
	s_and_b64 s[4:5], vcc, s[4:5]
	v_cndmask_b32_e64 v29, 0, 1, s[4:5]
	v_cmp_neq_f32_e64 s[4:5], v2, v4
	v_cmp_neq_f32_e64 s[6:7], v3, v5
	v_cmp_gt_u32_e32 vcc, s3, v26
	s_or_b64 s[4:5], s[4:5], s[6:7]
	s_and_b64 s[4:5], vcc, s[4:5]
	v_cndmask_b32_e64 v27, 0, 1, s[4:5]
	;; [unrolled: 6-line block ×6, first 2 shown]
	s_waitcnt vmcnt(0) lgkmcnt(0)
	v_cmp_neq_f32_e64 s[4:5], v16, v10
	v_cmp_neq_f32_e64 s[6:7], v17, v11
	v_lshlrev_b16_e32 v16, 8, v18
	v_cmp_gt_u32_e32 vcc, s3, v20
	s_or_b64 s[4:5], s[4:5], s[6:7]
	v_or_b32_sdwa v16, v19, v16 dst_sel:WORD_1 dst_unused:UNUSED_PAD src0_sel:DWORD src1_sel:DWORD
	v_lshlrev_b16_e32 v17, 8, v30
	s_and_b64 s[4:5], vcc, s[4:5]
	v_or_b32_e32 v18, v17, v16
.LBB95_29:
	s_mov_b64 s[42:43], -1
	s_cbranch_execnz .LBB95_24
.LBB95_30:
	s_movk_i32 s4, 0xffd0
	v_mad_i32_i24 v19, v0, s4, v1
	s_and_b64 vcc, exec, s[36:37]
	v_cmp_neq_f32_e64 s[26:27], v4, v14
	v_cmp_neq_f32_e64 s[4:5], v5, v15
	;; [unrolled: 1-line block ×12, first 2 shown]
	ds_write_b64 v19, v[14:15]
	s_cbranch_vccz .LBB95_34
; %bb.31:
	s_or_b64 s[6:7], s[6:7], s[16:17]
	v_cndmask_b32_e64 v27, 0, 1, s[6:7]
	s_or_b64 s[6:7], s[8:9], s[18:19]
	v_cndmask_b32_e64 v28, 0, 1, s[6:7]
	s_or_b64 s[6:7], s[10:11], s[20:21]
	s_waitcnt vmcnt(0) lgkmcnt(0)
	v_cndmask_b32_e64 v16, 0, 1, s[6:7]
	s_or_b64 s[6:7], s[12:13], s[22:23]
	v_cndmask_b32_e64 v18, 0, 1, s[6:7]
	s_or_b64 s[6:7], s[14:15], s[24:25]
	v_cndmask_b32_e64 v30, 0, 1, s[6:7]
	v_lshlrev_b16_e32 v17, 8, v27
	v_lshlrev_b16_e32 v16, 8, v16
	v_or_b32_e32 v17, v28, v17
	s_or_b64 s[4:5], s[26:27], s[4:5]
	v_or_b32_sdwa v16, v18, v16 dst_sel:WORD_1 dst_unused:UNUSED_PAD src0_sel:DWORD src1_sel:DWORD
	v_lshlrev_b16_e32 v18, 8, v30
	v_and_b32_e32 v17, 0xffff, v17
	v_cndmask_b32_e64 v29, 0, 1, s[4:5]
	v_or_b32_e32 v18, 1, v18
	v_lshl_or_b32 v17, v29, 16, v17
	v_or_b32_sdwa v16, v18, v16 dst_sel:DWORD dst_unused:UNUSED_PAD src0_sel:WORD_0 src1_sel:DWORD
	v_cmp_ne_u32_e32 vcc, 0, v0
	s_barrier
	s_waitcnt lgkmcnt(0)
                                        ; implicit-def: $sgpr4_sgpr5
                                        ; implicit-def: $vgpr18
	s_and_saveexec_b64 s[6:7], vcc
	s_xor_b64 s[6:7], exec, s[6:7]
	s_cbranch_execz .LBB95_33
; %bb.32:
	v_add_u32_e32 v17, -8, v19
	ds_read_b64 v[30:31], v17
	s_mov_b32 s4, 0x3020104
	v_perm_b32 v18, v16, v16, s4
	s_or_b64 s[42:43], s[42:43], exec
                                        ; implicit-def: $vgpr16_vgpr17
	s_waitcnt lgkmcnt(0)
	v_cmp_neq_f32_e32 vcc, v30, v10
	v_cmp_neq_f32_e64 s[4:5], v31, v11
	s_or_b64 s[4:5], vcc, s[4:5]
	s_and_b64 s[4:5], s[4:5], exec
.LBB95_33:
	s_or_b64 exec, exec, s[6:7]
	s_branch .LBB95_37
.LBB95_34:
                                        ; implicit-def: $sgpr4_sgpr5
                                        ; implicit-def: $vgpr29
                                        ; implicit-def: $vgpr27
                                        ; implicit-def: $vgpr28
                                        ; implicit-def: $vgpr18
                                        ; implicit-def: $vgpr16_vgpr17
	s_cbranch_execz .LBB95_37
; %bb.35:
	v_cmp_neq_f32_e64 s[4:5], v4, v14
	v_cmp_neq_f32_e64 s[6:7], v5, v15
	s_or_b64 s[10:11], s[4:5], s[6:7]
	v_cmp_neq_f32_e64 s[6:7], v2, v4
	v_cmp_neq_f32_e64 s[8:9], v3, v5
	v_cmp_gt_u32_e64 s[4:5], s3, v26
	s_or_b64 s[6:7], s[6:7], s[8:9]
	s_and_b64 s[4:5], s[4:5], s[6:7]
	v_cmp_neq_f32_e64 s[6:7], v8, v2
	v_cmp_neq_f32_e64 s[8:9], v9, v3
	v_cndmask_b32_e64 v27, 0, 1, s[4:5]
	v_cmp_gt_u32_e64 s[4:5], s3, v23
	s_or_b64 s[6:7], s[6:7], s[8:9]
	s_and_b64 s[4:5], s[4:5], s[6:7]
	v_cmp_neq_f32_e64 s[6:7], v6, v8
	v_cmp_neq_f32_e64 s[8:9], v7, v9
	v_cndmask_b32_e64 v28, 0, 1, s[4:5]
	v_cmp_gt_u32_e64 s[4:5], s3, v25
	s_or_b64 s[6:7], s[6:7], s[8:9]
	s_and_b64 s[4:5], s[4:5], s[6:7]
	v_cmp_neq_f32_e64 s[6:7], v12, v6
	v_cmp_neq_f32_e64 s[8:9], v13, v7
	s_waitcnt vmcnt(0) lgkmcnt(0)
	v_cndmask_b32_e64 v16, 0, 1, s[4:5]
	v_cmp_gt_u32_e64 s[4:5], s3, v21
	s_or_b64 s[6:7], s[6:7], s[8:9]
	s_and_b64 s[4:5], s[4:5], s[6:7]
	v_cmp_neq_f32_e64 s[6:7], v10, v12
	v_cmp_neq_f32_e64 s[8:9], v11, v13
	v_cndmask_b32_e64 v18, 0, 1, s[4:5]
	v_cmp_gt_u32_e64 s[4:5], s3, v22
	s_or_b64 s[6:7], s[6:7], s[8:9]
	s_and_b64 s[4:5], s[4:5], s[6:7]
	v_cmp_gt_u32_e32 vcc, s3, v24
	v_cndmask_b32_e64 v30, 0, 1, s[4:5]
	v_lshlrev_b16_e32 v17, 8, v27
	v_lshlrev_b16_e32 v16, 8, v16
	v_or_b32_e32 v17, v28, v17
	s_and_b64 s[4:5], vcc, s[10:11]
	v_or_b32_sdwa v16, v18, v16 dst_sel:WORD_1 dst_unused:UNUSED_PAD src0_sel:DWORD src1_sel:DWORD
	v_lshlrev_b16_e32 v18, 8, v30
	v_and_b32_e32 v17, 0xffff, v17
	v_cndmask_b32_e64 v29, 0, 1, s[4:5]
	v_or_b32_e32 v18, 1, v18
	v_lshl_or_b32 v17, v29, 16, v17
	v_or_b32_sdwa v16, v18, v16 dst_sel:DWORD dst_unused:UNUSED_PAD src0_sel:WORD_0 src1_sel:DWORD
	v_cmp_ne_u32_e32 vcc, 0, v0
	s_barrier
	s_waitcnt lgkmcnt(0)
                                        ; implicit-def: $sgpr4_sgpr5
                                        ; implicit-def: $vgpr18
	s_and_saveexec_b64 s[8:9], vcc
	s_cbranch_execz .LBB95_133
; %bb.36:
	v_add_u32_e32 v17, -8, v19
	ds_read_b64 v[30:31], v17
	s_mov_b32 s4, 0x3020104
	v_perm_b32 v18, v16, v16, s4
	v_cmp_gt_u32_e32 vcc, s3, v20
	s_or_b64 s[42:43], s[42:43], exec
	s_waitcnt lgkmcnt(0)
	v_cmp_neq_f32_e64 s[4:5], v30, v10
	v_cmp_neq_f32_e64 s[6:7], v31, v11
	s_or_b64 s[4:5], s[4:5], s[6:7]
	s_and_b64 s[4:5], vcc, s[4:5]
	s_and_b64 s[4:5], s[4:5], exec
                                        ; implicit-def: $vgpr16_vgpr17
	s_or_b64 exec, exec, s[8:9]
.LBB95_37:
	s_and_saveexec_b64 s[6:7], s[42:43]
	s_cbranch_execz .LBB95_39
.LBB95_38:
	s_waitcnt vmcnt(0) lgkmcnt(0)
	v_lshlrev_b16_e32 v17, 8, v27
	v_and_b32_e32 v19, 0xff, v29
	v_or_b32_sdwa v17, v28, v17 dst_sel:DWORD dst_unused:UNUSED_PAD src0_sel:BYTE_0 src1_sel:DWORD
	v_lshlrev_b32_e32 v19, 16, v19
	v_cndmask_b32_e64 v16, 0, 1, s[4:5]
	s_movk_i32 s4, 0xff
	v_or_b32_sdwa v17, v17, v19 dst_sel:DWORD dst_unused:UNUSED_PAD src0_sel:WORD_0 src1_sel:DWORD
	v_lshrrev_b32_e32 v19, 24, v18
	v_lshlrev_b16_e32 v19, 8, v19
	v_and_b32_sdwa v27, v18, s4 dst_sel:DWORD dst_unused:UNUSED_PAD src0_sel:WORD_1 src1_sel:DWORD
	v_or_b32_sdwa v19, v27, v19 dst_sel:WORD_1 dst_unused:UNUSED_PAD src0_sel:DWORD src1_sel:DWORD
	v_mov_b32_e32 v27, 8
	v_lshrrev_b32_sdwa v18, v27, v18 dst_sel:BYTE_1 dst_unused:UNUSED_PAD src0_sel:DWORD src1_sel:DWORD
	s_nop 0
	v_or_b32_e32 v16, v16, v18
	v_or_b32_sdwa v16, v16, v19 dst_sel:DWORD dst_unused:UNUSED_PAD src0_sel:WORD_0 src1_sel:DWORD
.LBB95_39:
	s_or_b64 exec, exec, s[6:7]
	s_load_dwordx2 s[20:21], s[0:1], 0x60
	s_andn2_b64 vcc, exec, s[38:39]
	s_cbranch_vccnz .LBB95_41
; %bb.40:
	s_waitcnt vmcnt(0) lgkmcnt(0)
	v_and_b32_e32 v18, 0xffff0000, v16
	v_cmp_gt_u32_e32 vcc, s3, v20
	s_mov_b32 s4, 0x40c0100
	s_nop 0
	v_cndmask_b32_e32 v18, v18, v16, vcc
	v_and_b32_e32 v18, 0xffff00ff, v18
	v_cmp_gt_u32_e32 vcc, s3, v22
	s_nop 1
	v_cndmask_b32_e32 v18, v18, v16, vcc
	v_lshrrev_b32_e32 v19, 24, v18
	v_perm_b32 v18, v19, v18, s4
	v_cmp_gt_u32_e32 vcc, s3, v21
	v_and_b32_e32 v19, 0xffffff00, v17
	s_nop 0
	v_cndmask_b32_e32 v18, v18, v16, vcc
	v_and_b32_e32 v18, 0xffffff, v18
	v_cmp_gt_u32_e32 vcc, s3, v25
	s_nop 1
	v_cndmask_b32_e32 v18, v18, v16, vcc
	v_cmp_gt_u32_e32 vcc, s3, v23
	s_nop 1
	v_cndmask_b32_e32 v19, v19, v17, vcc
	v_and_b32_e32 v19, 0xffff00ff, v19
	v_cndmask_b32_e32 v18, v18, v16, vcc
	v_cmp_gt_u32_e32 vcc, s3, v26
	s_nop 1
	v_cndmask_b32_e32 v19, v19, v17, vcc
	v_lshrrev_b32_e32 v20, 24, v19
	v_cndmask_b32_e32 v18, v18, v16, vcc
	v_perm_b32 v19, v20, v19, s4
	v_cmp_gt_u32_e32 vcc, s3, v24
	s_mov_b32 s3, 0x3020104
	s_nop 0
	v_cndmask_b32_e32 v16, v18, v16, vcc
	v_cndmask_b32_e32 v17, v19, v17, vcc
	v_mov_b32_e32 v18, 8
	v_lshrrev_b32_sdwa v18, v18, v17 dst_sel:BYTE_1 dst_unused:UNUSED_PAD src0_sel:DWORD src1_sel:DWORD
	v_perm_b32 v16, v16, v16, s3
	v_or_b32_sdwa v18, v17, v18 dst_sel:DWORD dst_unused:UNUSED_PAD src0_sel:BYTE_0 src1_sel:DWORD
	v_and_b32_e32 v18, 0xffff, v18
	v_bfe_u32 v17, v17, 16, 8
	v_lshl_or_b32 v17, v17, 16, v18
.LBB95_41:
	s_waitcnt vmcnt(0) lgkmcnt(0)
	v_and_b32_e32 v29, 0xff, v16
	v_bfe_u32 v31, v16, 8, 8
	v_bfe_u32 v33, v16, 16, 8
	v_alignbit_b32 v18, v17, v16, 24
	v_and_b32_e32 v35, 0xff, v18
	v_and_b32_e32 v37, 0xff, v17
	v_add3_u32 v19, v31, v29, v33
	v_bfe_u32 v38, v17, 8, 8
	v_bfe_u32 v18, v17, 16, 8
	v_add3_u32 v19, v19, v35, v37
	v_add3_u32 v41, v19, v38, v18
	v_mbcnt_lo_u32_b32 v18, -1, 0
	v_mbcnt_hi_u32_b32 v39, -1, v18
	v_and_b32_e32 v18, 15, v39
	v_cmp_eq_u32_e64 s[14:15], 0, v18
	v_cmp_lt_u32_e64 s[12:13], 1, v18
	v_cmp_lt_u32_e64 s[10:11], 3, v18
	;; [unrolled: 1-line block ×3, first 2 shown]
	v_and_b32_e32 v18, 16, v39
	v_cmp_eq_u32_e64 s[6:7], 0, v18
	v_or_b32_e32 v18, 63, v0
	v_cmp_lt_u32_e64 s[18:19], 31, v39
	v_lshrrev_b32_e32 v40, 6, v0
	v_cmp_eq_u32_e64 s[4:5], v18, v0
	s_and_b64 vcc, exec, s[40:41]
	s_barrier
	s_cbranch_vccz .LBB95_68
; %bb.42:
	v_mov_b32_dpp v18, v41 row_shr:1 row_mask:0xf bank_mask:0xf
	v_cndmask_b32_e64 v18, v18, 0, s[14:15]
	v_add_u32_e32 v18, v18, v41
	s_nop 1
	v_mov_b32_dpp v19, v18 row_shr:2 row_mask:0xf bank_mask:0xf
	v_cndmask_b32_e64 v19, 0, v19, s[12:13]
	v_add_u32_e32 v18, v18, v19
	s_nop 1
	;; [unrolled: 4-line block ×4, first 2 shown]
	v_mov_b32_dpp v19, v18 row_bcast:15 row_mask:0xf bank_mask:0xf
	v_cndmask_b32_e64 v19, v19, 0, s[6:7]
	v_add_u32_e32 v18, v18, v19
	s_nop 1
	v_mov_b32_dpp v19, v18 row_bcast:31 row_mask:0xf bank_mask:0xf
	v_cndmask_b32_e64 v19, 0, v19, s[18:19]
	v_add_u32_e32 v18, v18, v19
	s_and_saveexec_b64 s[16:17], s[4:5]
	s_cbranch_execz .LBB95_44
; %bb.43:
	v_lshlrev_b32_e32 v19, 2, v40
	ds_write_b32 v19, v18
.LBB95_44:
	s_or_b64 exec, exec, s[16:17]
	v_cmp_gt_u32_e32 vcc, 8, v0
	s_waitcnt lgkmcnt(0)
	s_barrier
	s_and_saveexec_b64 s[16:17], vcc
	s_cbranch_execz .LBB95_46
; %bb.45:
	v_lshlrev_b32_e32 v19, 2, v0
	ds_read_b32 v20, v19
	v_and_b32_e32 v21, 7, v39
	v_cmp_ne_u32_e32 vcc, 0, v21
	s_waitcnt lgkmcnt(0)
	v_mov_b32_dpp v22, v20 row_shr:1 row_mask:0xf bank_mask:0xf
	v_cndmask_b32_e32 v22, 0, v22, vcc
	v_add_u32_e32 v20, v22, v20
	v_cmp_lt_u32_e32 vcc, 1, v21
	s_nop 0
	v_mov_b32_dpp v22, v20 row_shr:2 row_mask:0xf bank_mask:0xf
	v_cndmask_b32_e32 v22, 0, v22, vcc
	v_add_u32_e32 v20, v20, v22
	v_cmp_lt_u32_e32 vcc, 3, v21
	s_nop 0
	v_mov_b32_dpp v22, v20 row_shr:4 row_mask:0xf bank_mask:0xf
	v_cndmask_b32_e32 v21, 0, v22, vcc
	v_add_u32_e32 v20, v20, v21
	ds_write_b32 v19, v20
.LBB95_46:
	s_or_b64 exec, exec, s[16:17]
	v_cmp_gt_u32_e32 vcc, 64, v0
	v_cmp_lt_u32_e64 s[16:17], 63, v0
	s_waitcnt lgkmcnt(0)
	s_barrier
	s_waitcnt lgkmcnt(0)
                                        ; implicit-def: $vgpr28
	s_and_saveexec_b64 s[22:23], s[16:17]
	s_cbranch_execz .LBB95_48
; %bb.47:
	v_lshl_add_u32 v19, v40, 2, -4
	ds_read_b32 v28, v19
	s_waitcnt lgkmcnt(0)
	v_add_u32_e32 v18, v28, v18
.LBB95_48:
	s_or_b64 exec, exec, s[22:23]
	v_add_u32_e32 v19, -1, v39
	v_and_b32_e32 v20, 64, v39
	v_cmp_lt_i32_e64 s[16:17], v19, v20
	s_nop 1
	v_cndmask_b32_e64 v19, v19, v39, s[16:17]
	v_lshlrev_b32_e32 v19, 2, v19
	ds_bpermute_b32 v30, v19, v18
	v_cmp_eq_u32_e64 s[16:17], 0, v39
	s_and_saveexec_b64 s[22:23], vcc
	s_cbranch_execz .LBB95_67
; %bb.49:
	v_mov_b32_e32 v25, 0
	ds_read_b32 v18, v25 offset:28
	s_and_saveexec_b64 s[24:25], s[16:17]
	s_cbranch_execz .LBB95_51
; %bb.50:
	s_add_i32 s26, s2, 64
	s_mov_b32 s27, 0
	s_lshl_b64 s[26:27], s[26:27], 3
	s_add_u32 s26, s20, s26
	v_mov_b32_e32 v19, 1
	s_addc_u32 s27, s21, s27
	s_waitcnt lgkmcnt(0)
	global_store_dwordx2 v25, v[18:19], s[26:27] sc1
.LBB95_51:
	s_or_b64 exec, exec, s[24:25]
	v_xad_u32 v20, v39, -1, s2
	v_add_u32_e32 v24, 64, v20
	v_lshl_add_u64 v[26:27], v[24:25], 3, s[20:21]
	global_load_dwordx2 v[22:23], v[26:27], off sc1
	s_waitcnt vmcnt(0)
	v_cmp_eq_u16_sdwa s[26:27], v23, v25 src0_sel:BYTE_0 src1_sel:DWORD
	s_and_saveexec_b64 s[24:25], s[26:27]
	s_cbranch_execz .LBB95_55
; %bb.52:
	s_mov_b64 s[26:27], 0
	v_mov_b32_e32 v19, 0
.LBB95_53:                              ; =>This Inner Loop Header: Depth=1
	global_load_dwordx2 v[22:23], v[26:27], off sc1
	s_waitcnt vmcnt(0)
	v_cmp_ne_u16_sdwa s[38:39], v23, v19 src0_sel:BYTE_0 src1_sel:DWORD
	s_or_b64 s[26:27], s[38:39], s[26:27]
	s_andn2_b64 exec, exec, s[26:27]
	s_cbranch_execnz .LBB95_53
; %bb.54:
	s_or_b64 exec, exec, s[26:27]
.LBB95_55:
	s_or_b64 exec, exec, s[24:25]
	v_and_b32_e32 v34, 63, v39
	v_mov_b32_e32 v32, 2
	v_cmp_ne_u32_e32 vcc, 63, v34
	v_cmp_eq_u16_sdwa s[24:25], v23, v32 src0_sel:BYTE_0 src1_sel:DWORD
	v_lshlrev_b64 v[24:25], v39, -1
	v_addc_co_u32_e32 v26, vcc, 0, v39, vcc
	v_and_b32_e32 v19, s25, v25
	v_lshlrev_b32_e32 v36, 2, v26
	v_or_b32_e32 v19, 0x80000000, v19
	ds_bpermute_b32 v26, v36, v22
	v_and_b32_e32 v21, s24, v24
	v_ffbl_b32_e32 v19, v19
	v_add_u32_e32 v19, 32, v19
	v_ffbl_b32_e32 v21, v21
	v_min_u32_e32 v19, v21, v19
	v_cmp_lt_u32_e32 vcc, v34, v19
	v_add_u32_e32 v43, 2, v34
	v_add_u32_e32 v45, 4, v34
	s_waitcnt lgkmcnt(0)
	v_cndmask_b32_e32 v21, 0, v26, vcc
	v_cmp_gt_u32_e32 vcc, 62, v34
	v_add_u32_e32 v21, v21, v22
	v_add_u32_e32 v47, 8, v34
	v_cndmask_b32_e64 v22, 0, 1, vcc
	v_lshlrev_b32_e32 v22, 1, v22
	v_add_lshl_u32 v42, v22, v39, 2
	ds_bpermute_b32 v22, v42, v21
	v_cmp_le_u32_e32 vcc, v43, v19
	v_add_u32_e32 v49, 16, v34
	v_add_u32_e32 v51, 32, v34
	s_waitcnt lgkmcnt(0)
	v_cndmask_b32_e32 v22, 0, v22, vcc
	v_cmp_gt_u32_e32 vcc, 60, v34
	v_add_u32_e32 v21, v21, v22
	s_nop 0
	v_cndmask_b32_e64 v22, 0, 1, vcc
	v_lshlrev_b32_e32 v22, 2, v22
	v_add_lshl_u32 v44, v22, v39, 2
	ds_bpermute_b32 v22, v44, v21
	v_cmp_le_u32_e32 vcc, v45, v19
	s_waitcnt lgkmcnt(0)
	s_nop 0
	v_cndmask_b32_e32 v22, 0, v22, vcc
	v_cmp_gt_u32_e32 vcc, 56, v34
	v_add_u32_e32 v21, v21, v22
	s_nop 0
	v_cndmask_b32_e64 v22, 0, 1, vcc
	v_lshlrev_b32_e32 v22, 3, v22
	v_add_lshl_u32 v46, v22, v39, 2
	ds_bpermute_b32 v22, v46, v21
	v_cmp_le_u32_e32 vcc, v47, v19
	s_waitcnt lgkmcnt(0)
	s_nop 0
	;; [unrolled: 11-line block ×4, first 2 shown]
	v_cndmask_b32_e32 v19, 0, v22, vcc
	v_add_u32_e32 v22, v21, v19
	v_mov_b32_e32 v21, 0
	s_branch .LBB95_57
.LBB95_56:                              ;   in Loop: Header=BB95_57 Depth=1
	s_or_b64 exec, exec, s[24:25]
	v_cmp_eq_u16_sdwa s[24:25], v23, v32 src0_sel:BYTE_0 src1_sel:DWORD
	ds_bpermute_b32 v52, v36, v22
	v_subrev_u32_e32 v20, 64, v20
	v_and_b32_e32 v26, s25, v25
	v_or_b32_e32 v26, 0x80000000, v26
	v_and_b32_e32 v27, s24, v24
	v_ffbl_b32_e32 v26, v26
	v_add_u32_e32 v26, 32, v26
	v_ffbl_b32_e32 v27, v27
	v_min_u32_e32 v26, v27, v26
	v_cmp_lt_u32_e32 vcc, v34, v26
	s_waitcnt lgkmcnt(0)
	s_nop 0
	v_cndmask_b32_e32 v27, 0, v52, vcc
	v_add_u32_e32 v22, v27, v22
	ds_bpermute_b32 v27, v42, v22
	v_cmp_le_u32_e32 vcc, v43, v26
	s_waitcnt lgkmcnt(0)
	s_nop 0
	v_cndmask_b32_e32 v27, 0, v27, vcc
	v_add_u32_e32 v22, v22, v27
	ds_bpermute_b32 v27, v44, v22
	v_cmp_le_u32_e32 vcc, v45, v26
	;; [unrolled: 6-line block ×5, first 2 shown]
	s_waitcnt lgkmcnt(0)
	s_nop 0
	v_cndmask_b32_e32 v26, 0, v27, vcc
	v_add3_u32 v22, v26, v19, v22
.LBB95_57:                              ; =>This Loop Header: Depth=1
                                        ;     Child Loop BB95_60 Depth 2
	v_cmp_ne_u16_sdwa s[24:25], v23, v32 src0_sel:BYTE_0 src1_sel:DWORD
	s_nop 1
	v_cndmask_b32_e64 v19, 0, 1, s[24:25]
	;;#ASMSTART
	;;#ASMEND
	s_nop 0
	v_cmp_ne_u32_e32 vcc, 0, v19
	s_cmp_lg_u64 vcc, exec
	v_mov_b32_e32 v19, v22
	s_cbranch_scc1 .LBB95_62
; %bb.58:                               ;   in Loop: Header=BB95_57 Depth=1
	v_lshl_add_u64 v[26:27], v[20:21], 3, s[20:21]
	global_load_dwordx2 v[22:23], v[26:27], off sc1
	s_waitcnt vmcnt(0)
	v_cmp_eq_u16_sdwa s[26:27], v23, v21 src0_sel:BYTE_0 src1_sel:DWORD
	s_and_saveexec_b64 s[24:25], s[26:27]
	s_cbranch_execz .LBB95_56
; %bb.59:                               ;   in Loop: Header=BB95_57 Depth=1
	s_mov_b64 s[26:27], 0
.LBB95_60:                              ;   Parent Loop BB95_57 Depth=1
                                        ; =>  This Inner Loop Header: Depth=2
	global_load_dwordx2 v[22:23], v[26:27], off sc1
	s_waitcnt vmcnt(0)
	v_cmp_ne_u16_sdwa s[38:39], v23, v21 src0_sel:BYTE_0 src1_sel:DWORD
	s_or_b64 s[26:27], s[38:39], s[26:27]
	s_andn2_b64 exec, exec, s[26:27]
	s_cbranch_execnz .LBB95_60
; %bb.61:                               ;   in Loop: Header=BB95_57 Depth=1
	s_or_b64 exec, exec, s[26:27]
	s_branch .LBB95_56
.LBB95_62:                              ;   in Loop: Header=BB95_57 Depth=1
                                        ; implicit-def: $vgpr22
                                        ; implicit-def: $vgpr23
	s_cbranch_execz .LBB95_57
; %bb.63:
	s_and_saveexec_b64 s[24:25], s[16:17]
	s_cbranch_execz .LBB95_65
; %bb.64:
	s_add_i32 s2, s2, 64
	s_mov_b32 s3, 0
	s_lshl_b64 s[2:3], s[2:3], 3
	s_add_u32 s2, s20, s2
	v_add_u32_e32 v20, v19, v18
	v_mov_b32_e32 v21, 2
	s_addc_u32 s3, s21, s3
	v_mov_b32_e32 v22, 0
	global_store_dwordx2 v22, v[20:21], s[2:3] sc1
	ds_write_b64 v22, v[18:19] offset:28672
.LBB95_65:
	s_or_b64 exec, exec, s[24:25]
	v_cmp_eq_u32_e32 vcc, 0, v0
	s_and_b64 exec, exec, vcc
	s_cbranch_execz .LBB95_67
; %bb.66:
	v_mov_b32_e32 v18, 0
	ds_write_b32 v18, v19 offset:28
.LBB95_67:
	s_or_b64 exec, exec, s[22:23]
	v_mov_b32_e32 v18, 0
	s_waitcnt lgkmcnt(0)
	s_barrier
	ds_read_b32 v19, v18 offset:28
	v_cndmask_b32_e64 v20, v30, v28, s[16:17]
	v_cmp_ne_u32_e32 vcc, 0, v0
	s_waitcnt lgkmcnt(0)
	s_barrier
	v_cndmask_b32_e32 v20, 0, v20, vcc
	v_add_u32_e32 v36, v19, v20
	v_add_u32_e32 v34, v36, v29
	ds_read_b64 v[18:19], v18 offset:28672
	v_add_u32_e32 v32, v34, v31
	v_add_u32_e32 v30, v32, v33
	;; [unrolled: 1-line block ×5, first 2 shown]
	s_waitcnt lgkmcnt(0)
	v_mov_b32_e32 v20, v19
	s_load_dwordx2 s[2:3], s[0:1], 0x28
	v_lshrrev_b64 v[22:23], 24, v[16:17]
	s_branch .LBB95_78
.LBB95_68:
                                        ; implicit-def: $vgpr20
                                        ; implicit-def: $vgpr18
                                        ; implicit-def: $vgpr24
                                        ; implicit-def: $vgpr26
                                        ; implicit-def: $vgpr28
                                        ; implicit-def: $vgpr30
                                        ; implicit-def: $vgpr32
                                        ; implicit-def: $vgpr34
                                        ; implicit-def: $vgpr36
	s_load_dwordx2 s[2:3], s[0:1], 0x28
	v_lshrrev_b64 v[22:23], 24, v[16:17]
	s_cbranch_execz .LBB95_78
; %bb.69:
	v_mov_b32_dpp v18, v41 row_shr:1 row_mask:0xf bank_mask:0xf
	v_cndmask_b32_e64 v18, v18, 0, s[14:15]
	v_add_u32_e32 v18, v18, v41
	s_nop 1
	v_mov_b32_dpp v19, v18 row_shr:2 row_mask:0xf bank_mask:0xf
	v_cndmask_b32_e64 v19, 0, v19, s[12:13]
	v_add_u32_e32 v18, v18, v19
	s_nop 1
	;; [unrolled: 4-line block ×4, first 2 shown]
	v_mov_b32_dpp v19, v18 row_bcast:15 row_mask:0xf bank_mask:0xf
	v_cndmask_b32_e64 v19, v19, 0, s[6:7]
	v_add_u32_e32 v18, v18, v19
	s_nop 1
	v_mov_b32_dpp v19, v18 row_bcast:31 row_mask:0xf bank_mask:0xf
	v_cndmask_b32_e64 v19, 0, v19, s[18:19]
	v_add_u32_e32 v18, v18, v19
	s_and_saveexec_b64 s[0:1], s[4:5]
	s_cbranch_execz .LBB95_71
; %bb.70:
	v_lshlrev_b32_e32 v19, 2, v40
	ds_write_b32 v19, v18
.LBB95_71:
	s_or_b64 exec, exec, s[0:1]
	v_cmp_gt_u32_e32 vcc, 8, v0
	s_waitcnt lgkmcnt(0)
	s_barrier
	s_and_saveexec_b64 s[0:1], vcc
	s_cbranch_execz .LBB95_73
; %bb.72:
	s_movk_i32 s4, 0xffcc
	v_mad_i32_i24 v1, v0, s4, v1
	ds_read_b32 v19, v1
	v_and_b32_e32 v20, 7, v39
	v_cmp_ne_u32_e32 vcc, 0, v20
	s_waitcnt lgkmcnt(0)
	v_mov_b32_dpp v21, v19 row_shr:1 row_mask:0xf bank_mask:0xf
	v_cndmask_b32_e32 v21, 0, v21, vcc
	v_add_u32_e32 v19, v21, v19
	v_cmp_lt_u32_e32 vcc, 1, v20
	s_nop 0
	v_mov_b32_dpp v21, v19 row_shr:2 row_mask:0xf bank_mask:0xf
	v_cndmask_b32_e32 v21, 0, v21, vcc
	v_add_u32_e32 v19, v19, v21
	v_cmp_lt_u32_e32 vcc, 3, v20
	s_nop 0
	v_mov_b32_dpp v21, v19 row_shr:4 row_mask:0xf bank_mask:0xf
	v_cndmask_b32_e32 v20, 0, v21, vcc
	v_add_u32_e32 v19, v19, v20
	ds_write_b32 v1, v19
.LBB95_73:
	s_or_b64 exec, exec, s[0:1]
	v_cmp_lt_u32_e32 vcc, 63, v0
	v_mov_b32_e32 v19, 0
	v_mov_b32_e32 v1, 0
	s_waitcnt lgkmcnt(0)
	s_barrier
	s_and_saveexec_b64 s[0:1], vcc
	s_cbranch_execz .LBB95_75
; %bb.74:
	v_lshl_add_u32 v1, v40, 2, -4
	ds_read_b32 v1, v1
.LBB95_75:
	s_or_b64 exec, exec, s[0:1]
	v_add_u32_e32 v20, -1, v39
	v_and_b32_e32 v21, 64, v39
	v_cmp_lt_i32_e32 vcc, v20, v21
	s_waitcnt lgkmcnt(0)
	v_add_u32_e32 v18, v1, v18
	v_cndmask_b32_e32 v20, v20, v39, vcc
	v_lshlrev_b32_e32 v20, 2, v20
	ds_bpermute_b32 v20, v20, v18
	ds_read_b32 v18, v19 offset:28
	v_cmp_eq_u32_e32 vcc, 0, v0
	s_and_saveexec_b64 s[0:1], vcc
	s_cbranch_execz .LBB95_77
; %bb.76:
	v_mov_b32_e32 v21, 0
	v_mov_b32_e32 v19, 2
	s_waitcnt lgkmcnt(0)
	global_store_dwordx2 v21, v[18:19], s[20:21] offset:512 sc1
.LBB95_77:
	s_or_b64 exec, exec, s[0:1]
	v_cmp_eq_u32_e64 s[0:1], 0, v39
	s_waitcnt lgkmcnt(0)
	s_barrier
	v_cndmask_b32_e64 v1, v20, v1, s[0:1]
	v_cndmask_b32_e64 v36, v1, 0, vcc
	v_add_u32_e32 v34, v36, v29
	v_add_u32_e32 v32, v34, v31
	v_add_u32_e32 v30, v32, v33
	v_add_u32_e32 v28, v30, v35
	v_add_u32_e32 v26, v28, v37
	v_mov_b32_e32 v20, 0
	v_add_u32_e32 v24, v26, v38
.LBB95_78:
	s_movk_i32 s0, 0x201
	v_cmp_gt_u32_e32 vcc, s0, v18
	v_lshrrev_b32_e32 v19, 8, v16
	v_lshrrev_b32_e32 v1, 8, v17
	s_mov_b64 s[0:1], -1
	s_cbranch_vccnz .LBB95_82
; %bb.79:
	s_and_b64 vcc, exec, s[0:1]
	s_cbranch_vccnz .LBB95_104
.LBB95_80:
	v_cmp_eq_u32_e32 vcc, 0, v0
	s_and_b64 s[0:1], vcc, s[34:35]
	s_waitcnt lgkmcnt(0)
	s_and_saveexec_b64 s[2:3], s[0:1]
	s_cbranch_execnz .LBB95_132
.LBB95_81:
	s_endpgm
.LBB95_82:
	v_add_u32_e32 v21, v20, v18
	s_lshl_b64 s[0:1], s[30:31], 3
	s_waitcnt lgkmcnt(0)
	s_add_u32 s0, s2, s0
	v_cmp_lt_u32_e32 vcc, v36, v21
	s_addc_u32 s1, s3, s1
	s_or_b64 s[6:7], s[36:37], vcc
	s_and_saveexec_b64 s[4:5], s[6:7]
	s_cbranch_execz .LBB95_85
; %bb.83:
	v_and_b32_e32 v23, 1, v16
	v_cmp_eq_u32_e32 vcc, 1, v23
	s_and_b64 exec, exec, vcc
	s_cbranch_execz .LBB95_85
; %bb.84:
	v_mov_b32_e32 v37, 0
	v_lshl_add_u64 v[38:39], v[36:37], 3, s[0:1]
	global_store_dwordx2 v[38:39], v[10:11], off
.LBB95_85:
	s_or_b64 exec, exec, s[4:5]
	v_cmp_lt_u32_e32 vcc, v34, v21
	s_or_b64 s[6:7], s[36:37], vcc
	s_and_saveexec_b64 s[4:5], s[6:7]
	s_cbranch_execz .LBB95_88
; %bb.86:
	v_and_b32_e32 v23, 1, v19
	v_cmp_eq_u32_e32 vcc, 1, v23
	s_and_b64 exec, exec, vcc
	s_cbranch_execz .LBB95_88
; %bb.87:
	v_mov_b32_e32 v35, 0
	v_lshl_add_u64 v[38:39], v[34:35], 3, s[0:1]
	global_store_dwordx2 v[38:39], v[12:13], off
.LBB95_88:
	s_or_b64 exec, exec, s[4:5]
	v_cmp_lt_u32_e32 vcc, v32, v21
	s_or_b64 s[6:7], s[36:37], vcc
	s_and_saveexec_b64 s[4:5], s[6:7]
	s_cbranch_execz .LBB95_91
; %bb.89:
	v_mov_b32_e32 v23, 1
	v_and_b32_sdwa v23, v23, v16 dst_sel:DWORD dst_unused:UNUSED_PAD src0_sel:DWORD src1_sel:WORD_1
	v_cmp_eq_u32_e32 vcc, 1, v23
	s_and_b64 exec, exec, vcc
	s_cbranch_execz .LBB95_91
; %bb.90:
	v_mov_b32_e32 v33, 0
	v_lshl_add_u64 v[38:39], v[32:33], 3, s[0:1]
	global_store_dwordx2 v[38:39], v[6:7], off
.LBB95_91:
	s_or_b64 exec, exec, s[4:5]
	v_cmp_lt_u32_e32 vcc, v30, v21
	s_or_b64 s[6:7], s[36:37], vcc
	s_and_saveexec_b64 s[4:5], s[6:7]
	s_cbranch_execz .LBB95_94
; %bb.92:
	v_and_b32_e32 v23, 1, v22
	v_cmp_eq_u32_e32 vcc, 1, v23
	s_and_b64 exec, exec, vcc
	s_cbranch_execz .LBB95_94
; %bb.93:
	v_mov_b32_e32 v31, 0
	v_lshl_add_u64 v[38:39], v[30:31], 3, s[0:1]
	global_store_dwordx2 v[38:39], v[8:9], off
.LBB95_94:
	s_or_b64 exec, exec, s[4:5]
	v_cmp_lt_u32_e32 vcc, v28, v21
	s_or_b64 s[6:7], s[36:37], vcc
	s_and_saveexec_b64 s[4:5], s[6:7]
	s_cbranch_execz .LBB95_97
; %bb.95:
	v_and_b32_e32 v23, 1, v17
	v_cmp_eq_u32_e32 vcc, 1, v23
	s_and_b64 exec, exec, vcc
	s_cbranch_execz .LBB95_97
; %bb.96:
	v_mov_b32_e32 v29, 0
	v_lshl_add_u64 v[38:39], v[28:29], 3, s[0:1]
	global_store_dwordx2 v[38:39], v[2:3], off
.LBB95_97:
	;; [unrolled: 15-line block ×3, first 2 shown]
	s_or_b64 exec, exec, s[4:5]
	v_cmp_lt_u32_e32 vcc, v24, v21
	s_or_b64 s[6:7], s[36:37], vcc
	s_and_saveexec_b64 s[4:5], s[6:7]
	s_cbranch_execz .LBB95_103
; %bb.101:
	v_mov_b32_e32 v21, 1
	v_and_b32_sdwa v21, v21, v17 dst_sel:DWORD dst_unused:UNUSED_PAD src0_sel:DWORD src1_sel:WORD_1
	v_cmp_eq_u32_e32 vcc, 1, v21
	s_and_b64 exec, exec, vcc
	s_cbranch_execz .LBB95_103
; %bb.102:
	v_mov_b32_e32 v25, 0
	v_lshl_add_u64 v[38:39], v[24:25], 3, s[0:1]
	global_store_dwordx2 v[38:39], v[14:15], off
.LBB95_103:
	s_or_b64 exec, exec, s[4:5]
	s_branch .LBB95_80
.LBB95_104:
	v_and_b32_e32 v21, 1, v16
	v_cmp_eq_u32_e32 vcc, 1, v21
	s_and_saveexec_b64 s[0:1], vcc
	s_cbranch_execz .LBB95_106
; %bb.105:
	v_sub_u32_e32 v21, v36, v20
	v_lshlrev_b32_e32 v21, 3, v21
	ds_write_b64 v21, v[10:11]
.LBB95_106:
	s_or_b64 exec, exec, s[0:1]
	v_and_b32_e32 v10, 1, v19
	v_cmp_eq_u32_e32 vcc, 1, v10
	s_and_saveexec_b64 s[0:1], vcc
	s_cbranch_execz .LBB95_108
; %bb.107:
	v_sub_u32_e32 v10, v34, v20
	v_lshlrev_b32_e32 v10, 3, v10
	ds_write_b64 v10, v[12:13]
.LBB95_108:
	s_or_b64 exec, exec, s[0:1]
	v_mov_b32_e32 v10, 1
	v_and_b32_sdwa v10, v10, v16 dst_sel:DWORD dst_unused:UNUSED_PAD src0_sel:DWORD src1_sel:WORD_1
	v_cmp_eq_u32_e32 vcc, 1, v10
	s_and_saveexec_b64 s[0:1], vcc
	s_cbranch_execz .LBB95_110
; %bb.109:
	v_sub_u32_e32 v10, v32, v20
	v_lshlrev_b32_e32 v10, 3, v10
	ds_write_b64 v10, v[6:7]
.LBB95_110:
	s_or_b64 exec, exec, s[0:1]
	v_and_b32_e32 v6, 1, v22
	v_cmp_eq_u32_e32 vcc, 1, v6
	s_and_saveexec_b64 s[0:1], vcc
	s_cbranch_execz .LBB95_112
; %bb.111:
	v_sub_u32_e32 v6, v30, v20
	v_lshlrev_b32_e32 v6, 3, v6
	ds_write_b64 v6, v[8:9]
.LBB95_112:
	s_or_b64 exec, exec, s[0:1]
	v_and_b32_e32 v6, 1, v17
	;; [unrolled: 10-line block ×3, first 2 shown]
	v_cmp_eq_u32_e32 vcc, 1, v1
	s_and_saveexec_b64 s[0:1], vcc
	s_cbranch_execz .LBB95_116
; %bb.115:
	v_sub_u32_e32 v1, v26, v20
	v_lshlrev_b32_e32 v1, 3, v1
	ds_write_b64 v1, v[4:5]
.LBB95_116:
	s_or_b64 exec, exec, s[0:1]
	v_mov_b32_e32 v1, 1
	v_and_b32_sdwa v1, v1, v17 dst_sel:DWORD dst_unused:UNUSED_PAD src0_sel:DWORD src1_sel:WORD_1
	v_cmp_eq_u32_e32 vcc, 1, v1
	s_and_saveexec_b64 s[0:1], vcc
	s_cbranch_execz .LBB95_118
; %bb.117:
	v_sub_u32_e32 v1, v24, v20
	v_lshlrev_b32_e32 v1, 3, v1
	ds_write_b64 v1, v[14:15]
.LBB95_118:
	s_or_b64 exec, exec, s[0:1]
	v_cmp_lt_u32_e32 vcc, v0, v18
	s_waitcnt lgkmcnt(0)
	s_barrier
	s_and_saveexec_b64 s[0:1], vcc
	s_cbranch_execz .LBB95_131
; %bb.119:
	s_lshl_b64 s[4:5], s[30:31], 3
	v_mov_b32_e32 v21, 0
	s_add_u32 s2, s2, s4
	s_addc_u32 s3, s3, s5
	v_lshlrev_b64 v[2:3], 3, v[20:21]
	v_lshl_add_u64 v[2:3], s[2:3], 0, v[2:3]
	v_xad_u32 v1, v0, -1, v18
	s_movk_i32 s2, 0x1ff
	v_cmp_lt_u32_e32 vcc, s2, v1
	s_mov_b64 s[4:5], -1
	v_mov_b32_e32 v4, v0
	s_and_saveexec_b64 s[2:3], vcc
	s_cbranch_execz .LBB95_128
; %bb.120:
	v_lshrrev_b32_e32 v8, 9, v1
	v_add_u32_e32 v4, -1, v8
	v_or_b32_e32 v1, 0x200, v0
	v_lshrrev_b32_e32 v5, 1, v4
	v_add_u32_e32 v10, 1, v5
	v_cmp_lt_u32_e32 vcc, 13, v4
	v_lshlrev_b32_e32 v9, 3, v0
	v_mov_b64_e32 v[4:5], v[0:1]
	s_and_saveexec_b64 s[4:5], vcc
	s_cbranch_execz .LBB95_124
; %bb.121:
	v_and_b32_e32 v11, -8, v10
	s_mov_b32 s8, 0
	s_mov_b64 s[6:7], 0
	v_mov_b32_e32 v7, 0
	v_mov_b32_e32 v12, v9
	v_mov_b64_e32 v[4:5], v[0:1]
.LBB95_122:                             ; =>This Inner Loop Header: Depth=1
	v_mov_b32_e32 v6, v4
	ds_read2st64_b64 v[14:17], v12 offset1:8
	ds_read2st64_b64 v[30:33], v12 offset0:48 offset1:56
	v_lshl_add_u64 v[64:65], v[6:7], 3, v[2:3]
	v_mov_b32_e32 v6, v5
	ds_read2st64_b64 v[22:25], v12 offset0:16 offset1:24
	ds_read2st64_b64 v[34:37], v12 offset0:64 offset1:72
	v_lshl_add_u64 v[66:67], v[6:7], 3, v[2:3]
	v_add_u32_e32 v6, 0x400, v4
	ds_read2st64_b64 v[38:41], v12 offset0:80 offset1:88
	v_lshl_add_u64 v[68:69], v[6:7], 3, v[2:3]
	v_add_u32_e32 v6, 0x800, v4
	v_add_u32_e32 v50, 0x400, v5
	v_mov_b32_e32 v51, v7
	v_add_u32_e32 v52, 0x800, v5
	v_mov_b32_e32 v53, v7
	ds_read2st64_b64 v[26:29], v12 offset0:32 offset1:40
	ds_read2st64_b64 v[42:45], v12 offset0:96 offset1:104
	v_lshl_add_u64 v[70:71], v[6:7], 3, v[2:3]
	v_add_u32_e32 v6, 0xc00, v4
	v_add_u32_e32 v54, 0xc00, v5
	v_mov_b32_e32 v55, v7
	ds_read2st64_b64 v[46:49], v12 offset0:112 offset1:120
	v_lshl_add_u64 v[50:51], v[50:51], 3, v[2:3]
	v_lshl_add_u64 v[52:53], v[52:53], 3, v[2:3]
	s_waitcnt lgkmcnt(7)
	global_store_dwordx2 v[64:65], v[14:15], off
	global_store_dwordx2 v[66:67], v[16:17], off
	s_waitcnt lgkmcnt(5)
	global_store_dwordx2 v[68:69], v[22:23], off
	global_store_dwordx2 v[50:51], v[24:25], off
	;; [unrolled: 3-line block ×3, first 2 shown]
	v_lshl_add_u64 v[14:15], v[6:7], 3, v[2:3]
	v_add_u32_e32 v6, 0x1000, v4
	v_add_u32_e32 v56, 0x1000, v5
	v_mov_b32_e32 v57, v7
	v_lshl_add_u64 v[54:55], v[54:55], 3, v[2:3]
	global_store_dwordx2 v[14:15], v[30:31], off
	global_store_dwordx2 v[54:55], v[32:33], off
	v_lshl_add_u64 v[14:15], v[6:7], 3, v[2:3]
	v_add_u32_e32 v6, 0x1400, v4
	v_add_u32_e32 v58, 0x1400, v5
	v_mov_b32_e32 v59, v7
	v_add_u32_e32 v11, -8, v11
	v_lshl_add_u64 v[56:57], v[56:57], 3, v[2:3]
	global_store_dwordx2 v[14:15], v[34:35], off
	global_store_dwordx2 v[56:57], v[36:37], off
	v_lshl_add_u64 v[14:15], v[6:7], 3, v[2:3]
	v_add_u32_e32 v6, 0x1800, v4
	v_add_u32_e32 v60, 0x1800, v5
	v_mov_b32_e32 v61, v7
	s_add_i32 s8, s8, 16
	v_lshl_add_u64 v[58:59], v[58:59], 3, v[2:3]
	v_cmp_eq_u32_e32 vcc, 0, v11
	global_store_dwordx2 v[14:15], v[38:39], off
	global_store_dwordx2 v[58:59], v[40:41], off
	v_lshl_add_u64 v[14:15], v[6:7], 3, v[2:3]
	v_add_u32_e32 v6, 0x1c00, v4
	v_add_u32_e32 v62, 0x1c00, v5
	v_mov_b32_e32 v63, v7
	v_add_u32_e32 v12, 0x10000, v12
	v_lshl_add_u64 v[60:61], v[60:61], 3, v[2:3]
	v_add_u32_e32 v5, 0x2000, v5
	v_mov_b32_e32 v21, s8
	s_or_b64 s[6:7], vcc, s[6:7]
	v_add_u32_e32 v4, 0x2000, v4
	s_waitcnt lgkmcnt(1)
	global_store_dwordx2 v[14:15], v[42:43], off
	global_store_dwordx2 v[60:61], v[44:45], off
	v_lshl_add_u64 v[14:15], v[6:7], 3, v[2:3]
	v_lshl_add_u64 v[62:63], v[62:63], 3, v[2:3]
	s_waitcnt lgkmcnt(0)
	global_store_dwordx2 v[14:15], v[46:47], off
	global_store_dwordx2 v[62:63], v[48:49], off
	s_andn2_b64 exec, exec, s[6:7]
	s_cbranch_execnz .LBB95_122
; %bb.123:
	s_or_b64 exec, exec, s[6:7]
.LBB95_124:
	s_or_b64 exec, exec, s[4:5]
	v_and_b32_e32 v1, 7, v10
	v_cmp_ne_u32_e32 vcc, 0, v1
	s_and_saveexec_b64 s[4:5], vcc
	s_cbranch_execz .LBB95_127
; %bb.125:
	v_lshl_or_b32 v9, v21, 12, v9
	s_mov_b64 s[6:7], 0
	v_mov_b32_e32 v7, 0
.LBB95_126:                             ; =>This Inner Loop Header: Depth=1
	ds_read2st64_b64 v[10:13], v9 offset1:8
	v_add_u32_e32 v1, -1, v1
	v_mov_b32_e32 v6, v4
	v_cmp_eq_u32_e32 vcc, 0, v1
	v_add_u32_e32 v4, 0x400, v4
	v_add_u32_e32 v9, 0x2000, v9
	v_lshl_add_u64 v[14:15], v[6:7], 3, v[2:3]
	v_mov_b32_e32 v6, v5
	v_add_u32_e32 v5, 0x400, v5
	s_or_b64 s[6:7], vcc, s[6:7]
	v_lshl_add_u64 v[16:17], v[6:7], 3, v[2:3]
	s_waitcnt lgkmcnt(0)
	global_store_dwordx2 v[14:15], v[10:11], off
	global_store_dwordx2 v[16:17], v[12:13], off
	s_andn2_b64 exec, exec, s[6:7]
	s_cbranch_execnz .LBB95_126
.LBB95_127:
	s_or_b64 exec, exec, s[4:5]
	v_add_u32_e32 v1, 1, v8
	v_and_b32_e32 v5, 0xfffffe, v1
	v_cmp_ne_u32_e32 vcc, v1, v5
	v_lshl_or_b32 v4, v5, 9, v0
	s_orn2_b64 s[4:5], vcc, exec
.LBB95_128:
	s_or_b64 exec, exec, s[2:3]
	s_and_b64 exec, exec, s[4:5]
	s_cbranch_execz .LBB95_131
; %bb.129:
	v_lshlrev_b32_e32 v1, 3, v4
	s_mov_b64 s[2:3], 0
	v_mov_b32_e32 v5, 0
.LBB95_130:                             ; =>This Inner Loop Header: Depth=1
	ds_read_b64 v[8:9], v1
	v_lshl_add_u64 v[6:7], v[4:5], 3, v[2:3]
	v_add_u32_e32 v4, 0x200, v4
	v_cmp_ge_u32_e32 vcc, v4, v18
	v_add_u32_e32 v1, 0x1000, v1
	s_or_b64 s[2:3], vcc, s[2:3]
	s_waitcnt lgkmcnt(0)
	global_store_dwordx2 v[6:7], v[8:9], off
	s_andn2_b64 exec, exec, s[2:3]
	s_cbranch_execnz .LBB95_130
.LBB95_131:
	s_or_b64 exec, exec, s[0:1]
	v_cmp_eq_u32_e32 vcc, 0, v0
	s_and_b64 s[0:1], vcc, s[34:35]
	s_and_saveexec_b64 s[2:3], s[0:1]
	s_cbranch_execz .LBB95_81
.LBB95_132:
	v_mov_b32_e32 v19, 0
	v_lshl_add_u64 v[0:1], s[30:31], 0, v[18:19]
	v_mov_b32_e32 v21, v19
	v_lshl_add_u64 v[0:1], v[0:1], 0, v[20:21]
	global_store_dwordx2 v19, v[0:1], s[28:29]
	s_endpgm
.LBB95_133:
	s_or_b64 exec, exec, s[8:9]
	s_and_saveexec_b64 s[6:7], s[42:43]
	s_cbranch_execnz .LBB95_38
	s_branch .LBB95_39
	.section	.rodata,"a",@progbits
	.p2align	6, 0x0
	.amdhsa_kernel _ZN7rocprim17ROCPRIM_400000_NS6detail17trampoline_kernelINS0_14default_configENS1_25partition_config_selectorILNS1_17partition_subalgoE8EN6thrust23THRUST_200600_302600_NS5tupleIffNS7_9null_typeES9_S9_S9_S9_S9_S9_S9_EENS0_10empty_typeEbEEZZNS1_14partition_implILS5_8ELb0ES3_jNS7_6detail15normal_iteratorINS7_10device_ptrISA_EEEEPSB_PKSB_NS0_5tupleIJSI_SB_EEENSM_IJSJ_SJ_EEENS0_18inequality_wrapperINS7_8equal_toISA_EEEEPmJSB_EEE10hipError_tPvRmT3_T4_T5_T6_T7_T9_mT8_P12ihipStream_tbDpT10_ENKUlT_T0_E_clISt17integral_constantIbLb0EES1D_EEDaS18_S19_EUlS18_E_NS1_11comp_targetILNS1_3genE5ELNS1_11target_archE942ELNS1_3gpuE9ELNS1_3repE0EEENS1_30default_config_static_selectorELNS0_4arch9wavefront6targetE1EEEvT1_
		.amdhsa_group_segment_fixed_size 28680
		.amdhsa_private_segment_fixed_size 0
		.amdhsa_kernarg_size 112
		.amdhsa_user_sgpr_count 2
		.amdhsa_user_sgpr_dispatch_ptr 0
		.amdhsa_user_sgpr_queue_ptr 0
		.amdhsa_user_sgpr_kernarg_segment_ptr 1
		.amdhsa_user_sgpr_dispatch_id 0
		.amdhsa_user_sgpr_kernarg_preload_length 0
		.amdhsa_user_sgpr_kernarg_preload_offset 0
		.amdhsa_user_sgpr_private_segment_size 0
		.amdhsa_uses_dynamic_stack 0
		.amdhsa_enable_private_segment 0
		.amdhsa_system_sgpr_workgroup_id_x 1
		.amdhsa_system_sgpr_workgroup_id_y 0
		.amdhsa_system_sgpr_workgroup_id_z 0
		.amdhsa_system_sgpr_workgroup_info 0
		.amdhsa_system_vgpr_workitem_id 0
		.amdhsa_next_free_vgpr 72
		.amdhsa_next_free_sgpr 44
		.amdhsa_accum_offset 72
		.amdhsa_reserve_vcc 1
		.amdhsa_float_round_mode_32 0
		.amdhsa_float_round_mode_16_64 0
		.amdhsa_float_denorm_mode_32 3
		.amdhsa_float_denorm_mode_16_64 3
		.amdhsa_dx10_clamp 1
		.amdhsa_ieee_mode 1
		.amdhsa_fp16_overflow 0
		.amdhsa_tg_split 0
		.amdhsa_exception_fp_ieee_invalid_op 0
		.amdhsa_exception_fp_denorm_src 0
		.amdhsa_exception_fp_ieee_div_zero 0
		.amdhsa_exception_fp_ieee_overflow 0
		.amdhsa_exception_fp_ieee_underflow 0
		.amdhsa_exception_fp_ieee_inexact 0
		.amdhsa_exception_int_div_zero 0
	.end_amdhsa_kernel
	.section	.text._ZN7rocprim17ROCPRIM_400000_NS6detail17trampoline_kernelINS0_14default_configENS1_25partition_config_selectorILNS1_17partition_subalgoE8EN6thrust23THRUST_200600_302600_NS5tupleIffNS7_9null_typeES9_S9_S9_S9_S9_S9_S9_EENS0_10empty_typeEbEEZZNS1_14partition_implILS5_8ELb0ES3_jNS7_6detail15normal_iteratorINS7_10device_ptrISA_EEEEPSB_PKSB_NS0_5tupleIJSI_SB_EEENSM_IJSJ_SJ_EEENS0_18inequality_wrapperINS7_8equal_toISA_EEEEPmJSB_EEE10hipError_tPvRmT3_T4_T5_T6_T7_T9_mT8_P12ihipStream_tbDpT10_ENKUlT_T0_E_clISt17integral_constantIbLb0EES1D_EEDaS18_S19_EUlS18_E_NS1_11comp_targetILNS1_3genE5ELNS1_11target_archE942ELNS1_3gpuE9ELNS1_3repE0EEENS1_30default_config_static_selectorELNS0_4arch9wavefront6targetE1EEEvT1_,"axG",@progbits,_ZN7rocprim17ROCPRIM_400000_NS6detail17trampoline_kernelINS0_14default_configENS1_25partition_config_selectorILNS1_17partition_subalgoE8EN6thrust23THRUST_200600_302600_NS5tupleIffNS7_9null_typeES9_S9_S9_S9_S9_S9_S9_EENS0_10empty_typeEbEEZZNS1_14partition_implILS5_8ELb0ES3_jNS7_6detail15normal_iteratorINS7_10device_ptrISA_EEEEPSB_PKSB_NS0_5tupleIJSI_SB_EEENSM_IJSJ_SJ_EEENS0_18inequality_wrapperINS7_8equal_toISA_EEEEPmJSB_EEE10hipError_tPvRmT3_T4_T5_T6_T7_T9_mT8_P12ihipStream_tbDpT10_ENKUlT_T0_E_clISt17integral_constantIbLb0EES1D_EEDaS18_S19_EUlS18_E_NS1_11comp_targetILNS1_3genE5ELNS1_11target_archE942ELNS1_3gpuE9ELNS1_3repE0EEENS1_30default_config_static_selectorELNS0_4arch9wavefront6targetE1EEEvT1_,comdat
.Lfunc_end95:
	.size	_ZN7rocprim17ROCPRIM_400000_NS6detail17trampoline_kernelINS0_14default_configENS1_25partition_config_selectorILNS1_17partition_subalgoE8EN6thrust23THRUST_200600_302600_NS5tupleIffNS7_9null_typeES9_S9_S9_S9_S9_S9_S9_EENS0_10empty_typeEbEEZZNS1_14partition_implILS5_8ELb0ES3_jNS7_6detail15normal_iteratorINS7_10device_ptrISA_EEEEPSB_PKSB_NS0_5tupleIJSI_SB_EEENSM_IJSJ_SJ_EEENS0_18inequality_wrapperINS7_8equal_toISA_EEEEPmJSB_EEE10hipError_tPvRmT3_T4_T5_T6_T7_T9_mT8_P12ihipStream_tbDpT10_ENKUlT_T0_E_clISt17integral_constantIbLb0EES1D_EEDaS18_S19_EUlS18_E_NS1_11comp_targetILNS1_3genE5ELNS1_11target_archE942ELNS1_3gpuE9ELNS1_3repE0EEENS1_30default_config_static_selectorELNS0_4arch9wavefront6targetE1EEEvT1_, .Lfunc_end95-_ZN7rocprim17ROCPRIM_400000_NS6detail17trampoline_kernelINS0_14default_configENS1_25partition_config_selectorILNS1_17partition_subalgoE8EN6thrust23THRUST_200600_302600_NS5tupleIffNS7_9null_typeES9_S9_S9_S9_S9_S9_S9_EENS0_10empty_typeEbEEZZNS1_14partition_implILS5_8ELb0ES3_jNS7_6detail15normal_iteratorINS7_10device_ptrISA_EEEEPSB_PKSB_NS0_5tupleIJSI_SB_EEENSM_IJSJ_SJ_EEENS0_18inequality_wrapperINS7_8equal_toISA_EEEEPmJSB_EEE10hipError_tPvRmT3_T4_T5_T6_T7_T9_mT8_P12ihipStream_tbDpT10_ENKUlT_T0_E_clISt17integral_constantIbLb0EES1D_EEDaS18_S19_EUlS18_E_NS1_11comp_targetILNS1_3genE5ELNS1_11target_archE942ELNS1_3gpuE9ELNS1_3repE0EEENS1_30default_config_static_selectorELNS0_4arch9wavefront6targetE1EEEvT1_
                                        ; -- End function
	.section	.AMDGPU.csdata,"",@progbits
; Kernel info:
; codeLenInByte = 6592
; NumSgprs: 50
; NumVgprs: 72
; NumAgprs: 0
; TotalNumVgprs: 72
; ScratchSize: 0
; MemoryBound: 0
; FloatMode: 240
; IeeeMode: 1
; LDSByteSize: 28680 bytes/workgroup (compile time only)
; SGPRBlocks: 6
; VGPRBlocks: 8
; NumSGPRsForWavesPerEU: 50
; NumVGPRsForWavesPerEU: 72
; AccumOffset: 72
; Occupancy: 4
; WaveLimiterHint : 1
; COMPUTE_PGM_RSRC2:SCRATCH_EN: 0
; COMPUTE_PGM_RSRC2:USER_SGPR: 2
; COMPUTE_PGM_RSRC2:TRAP_HANDLER: 0
; COMPUTE_PGM_RSRC2:TGID_X_EN: 1
; COMPUTE_PGM_RSRC2:TGID_Y_EN: 0
; COMPUTE_PGM_RSRC2:TGID_Z_EN: 0
; COMPUTE_PGM_RSRC2:TIDIG_COMP_CNT: 0
; COMPUTE_PGM_RSRC3_GFX90A:ACCUM_OFFSET: 17
; COMPUTE_PGM_RSRC3_GFX90A:TG_SPLIT: 0
	.section	.text._ZN7rocprim17ROCPRIM_400000_NS6detail17trampoline_kernelINS0_14default_configENS1_25partition_config_selectorILNS1_17partition_subalgoE8EN6thrust23THRUST_200600_302600_NS5tupleIffNS7_9null_typeES9_S9_S9_S9_S9_S9_S9_EENS0_10empty_typeEbEEZZNS1_14partition_implILS5_8ELb0ES3_jNS7_6detail15normal_iteratorINS7_10device_ptrISA_EEEEPSB_PKSB_NS0_5tupleIJSI_SB_EEENSM_IJSJ_SJ_EEENS0_18inequality_wrapperINS7_8equal_toISA_EEEEPmJSB_EEE10hipError_tPvRmT3_T4_T5_T6_T7_T9_mT8_P12ihipStream_tbDpT10_ENKUlT_T0_E_clISt17integral_constantIbLb0EES1D_EEDaS18_S19_EUlS18_E_NS1_11comp_targetILNS1_3genE4ELNS1_11target_archE910ELNS1_3gpuE8ELNS1_3repE0EEENS1_30default_config_static_selectorELNS0_4arch9wavefront6targetE1EEEvT1_,"axG",@progbits,_ZN7rocprim17ROCPRIM_400000_NS6detail17trampoline_kernelINS0_14default_configENS1_25partition_config_selectorILNS1_17partition_subalgoE8EN6thrust23THRUST_200600_302600_NS5tupleIffNS7_9null_typeES9_S9_S9_S9_S9_S9_S9_EENS0_10empty_typeEbEEZZNS1_14partition_implILS5_8ELb0ES3_jNS7_6detail15normal_iteratorINS7_10device_ptrISA_EEEEPSB_PKSB_NS0_5tupleIJSI_SB_EEENSM_IJSJ_SJ_EEENS0_18inequality_wrapperINS7_8equal_toISA_EEEEPmJSB_EEE10hipError_tPvRmT3_T4_T5_T6_T7_T9_mT8_P12ihipStream_tbDpT10_ENKUlT_T0_E_clISt17integral_constantIbLb0EES1D_EEDaS18_S19_EUlS18_E_NS1_11comp_targetILNS1_3genE4ELNS1_11target_archE910ELNS1_3gpuE8ELNS1_3repE0EEENS1_30default_config_static_selectorELNS0_4arch9wavefront6targetE1EEEvT1_,comdat
	.protected	_ZN7rocprim17ROCPRIM_400000_NS6detail17trampoline_kernelINS0_14default_configENS1_25partition_config_selectorILNS1_17partition_subalgoE8EN6thrust23THRUST_200600_302600_NS5tupleIffNS7_9null_typeES9_S9_S9_S9_S9_S9_S9_EENS0_10empty_typeEbEEZZNS1_14partition_implILS5_8ELb0ES3_jNS7_6detail15normal_iteratorINS7_10device_ptrISA_EEEEPSB_PKSB_NS0_5tupleIJSI_SB_EEENSM_IJSJ_SJ_EEENS0_18inequality_wrapperINS7_8equal_toISA_EEEEPmJSB_EEE10hipError_tPvRmT3_T4_T5_T6_T7_T9_mT8_P12ihipStream_tbDpT10_ENKUlT_T0_E_clISt17integral_constantIbLb0EES1D_EEDaS18_S19_EUlS18_E_NS1_11comp_targetILNS1_3genE4ELNS1_11target_archE910ELNS1_3gpuE8ELNS1_3repE0EEENS1_30default_config_static_selectorELNS0_4arch9wavefront6targetE1EEEvT1_ ; -- Begin function _ZN7rocprim17ROCPRIM_400000_NS6detail17trampoline_kernelINS0_14default_configENS1_25partition_config_selectorILNS1_17partition_subalgoE8EN6thrust23THRUST_200600_302600_NS5tupleIffNS7_9null_typeES9_S9_S9_S9_S9_S9_S9_EENS0_10empty_typeEbEEZZNS1_14partition_implILS5_8ELb0ES3_jNS7_6detail15normal_iteratorINS7_10device_ptrISA_EEEEPSB_PKSB_NS0_5tupleIJSI_SB_EEENSM_IJSJ_SJ_EEENS0_18inequality_wrapperINS7_8equal_toISA_EEEEPmJSB_EEE10hipError_tPvRmT3_T4_T5_T6_T7_T9_mT8_P12ihipStream_tbDpT10_ENKUlT_T0_E_clISt17integral_constantIbLb0EES1D_EEDaS18_S19_EUlS18_E_NS1_11comp_targetILNS1_3genE4ELNS1_11target_archE910ELNS1_3gpuE8ELNS1_3repE0EEENS1_30default_config_static_selectorELNS0_4arch9wavefront6targetE1EEEvT1_
	.globl	_ZN7rocprim17ROCPRIM_400000_NS6detail17trampoline_kernelINS0_14default_configENS1_25partition_config_selectorILNS1_17partition_subalgoE8EN6thrust23THRUST_200600_302600_NS5tupleIffNS7_9null_typeES9_S9_S9_S9_S9_S9_S9_EENS0_10empty_typeEbEEZZNS1_14partition_implILS5_8ELb0ES3_jNS7_6detail15normal_iteratorINS7_10device_ptrISA_EEEEPSB_PKSB_NS0_5tupleIJSI_SB_EEENSM_IJSJ_SJ_EEENS0_18inequality_wrapperINS7_8equal_toISA_EEEEPmJSB_EEE10hipError_tPvRmT3_T4_T5_T6_T7_T9_mT8_P12ihipStream_tbDpT10_ENKUlT_T0_E_clISt17integral_constantIbLb0EES1D_EEDaS18_S19_EUlS18_E_NS1_11comp_targetILNS1_3genE4ELNS1_11target_archE910ELNS1_3gpuE8ELNS1_3repE0EEENS1_30default_config_static_selectorELNS0_4arch9wavefront6targetE1EEEvT1_
	.p2align	8
	.type	_ZN7rocprim17ROCPRIM_400000_NS6detail17trampoline_kernelINS0_14default_configENS1_25partition_config_selectorILNS1_17partition_subalgoE8EN6thrust23THRUST_200600_302600_NS5tupleIffNS7_9null_typeES9_S9_S9_S9_S9_S9_S9_EENS0_10empty_typeEbEEZZNS1_14partition_implILS5_8ELb0ES3_jNS7_6detail15normal_iteratorINS7_10device_ptrISA_EEEEPSB_PKSB_NS0_5tupleIJSI_SB_EEENSM_IJSJ_SJ_EEENS0_18inequality_wrapperINS7_8equal_toISA_EEEEPmJSB_EEE10hipError_tPvRmT3_T4_T5_T6_T7_T9_mT8_P12ihipStream_tbDpT10_ENKUlT_T0_E_clISt17integral_constantIbLb0EES1D_EEDaS18_S19_EUlS18_E_NS1_11comp_targetILNS1_3genE4ELNS1_11target_archE910ELNS1_3gpuE8ELNS1_3repE0EEENS1_30default_config_static_selectorELNS0_4arch9wavefront6targetE1EEEvT1_,@function
_ZN7rocprim17ROCPRIM_400000_NS6detail17trampoline_kernelINS0_14default_configENS1_25partition_config_selectorILNS1_17partition_subalgoE8EN6thrust23THRUST_200600_302600_NS5tupleIffNS7_9null_typeES9_S9_S9_S9_S9_S9_S9_EENS0_10empty_typeEbEEZZNS1_14partition_implILS5_8ELb0ES3_jNS7_6detail15normal_iteratorINS7_10device_ptrISA_EEEEPSB_PKSB_NS0_5tupleIJSI_SB_EEENSM_IJSJ_SJ_EEENS0_18inequality_wrapperINS7_8equal_toISA_EEEEPmJSB_EEE10hipError_tPvRmT3_T4_T5_T6_T7_T9_mT8_P12ihipStream_tbDpT10_ENKUlT_T0_E_clISt17integral_constantIbLb0EES1D_EEDaS18_S19_EUlS18_E_NS1_11comp_targetILNS1_3genE4ELNS1_11target_archE910ELNS1_3gpuE8ELNS1_3repE0EEENS1_30default_config_static_selectorELNS0_4arch9wavefront6targetE1EEEvT1_: ; @_ZN7rocprim17ROCPRIM_400000_NS6detail17trampoline_kernelINS0_14default_configENS1_25partition_config_selectorILNS1_17partition_subalgoE8EN6thrust23THRUST_200600_302600_NS5tupleIffNS7_9null_typeES9_S9_S9_S9_S9_S9_S9_EENS0_10empty_typeEbEEZZNS1_14partition_implILS5_8ELb0ES3_jNS7_6detail15normal_iteratorINS7_10device_ptrISA_EEEEPSB_PKSB_NS0_5tupleIJSI_SB_EEENSM_IJSJ_SJ_EEENS0_18inequality_wrapperINS7_8equal_toISA_EEEEPmJSB_EEE10hipError_tPvRmT3_T4_T5_T6_T7_T9_mT8_P12ihipStream_tbDpT10_ENKUlT_T0_E_clISt17integral_constantIbLb0EES1D_EEDaS18_S19_EUlS18_E_NS1_11comp_targetILNS1_3genE4ELNS1_11target_archE910ELNS1_3gpuE8ELNS1_3repE0EEENS1_30default_config_static_selectorELNS0_4arch9wavefront6targetE1EEEvT1_
; %bb.0:
	.section	.rodata,"a",@progbits
	.p2align	6, 0x0
	.amdhsa_kernel _ZN7rocprim17ROCPRIM_400000_NS6detail17trampoline_kernelINS0_14default_configENS1_25partition_config_selectorILNS1_17partition_subalgoE8EN6thrust23THRUST_200600_302600_NS5tupleIffNS7_9null_typeES9_S9_S9_S9_S9_S9_S9_EENS0_10empty_typeEbEEZZNS1_14partition_implILS5_8ELb0ES3_jNS7_6detail15normal_iteratorINS7_10device_ptrISA_EEEEPSB_PKSB_NS0_5tupleIJSI_SB_EEENSM_IJSJ_SJ_EEENS0_18inequality_wrapperINS7_8equal_toISA_EEEEPmJSB_EEE10hipError_tPvRmT3_T4_T5_T6_T7_T9_mT8_P12ihipStream_tbDpT10_ENKUlT_T0_E_clISt17integral_constantIbLb0EES1D_EEDaS18_S19_EUlS18_E_NS1_11comp_targetILNS1_3genE4ELNS1_11target_archE910ELNS1_3gpuE8ELNS1_3repE0EEENS1_30default_config_static_selectorELNS0_4arch9wavefront6targetE1EEEvT1_
		.amdhsa_group_segment_fixed_size 0
		.amdhsa_private_segment_fixed_size 0
		.amdhsa_kernarg_size 112
		.amdhsa_user_sgpr_count 2
		.amdhsa_user_sgpr_dispatch_ptr 0
		.amdhsa_user_sgpr_queue_ptr 0
		.amdhsa_user_sgpr_kernarg_segment_ptr 1
		.amdhsa_user_sgpr_dispatch_id 0
		.amdhsa_user_sgpr_kernarg_preload_length 0
		.amdhsa_user_sgpr_kernarg_preload_offset 0
		.amdhsa_user_sgpr_private_segment_size 0
		.amdhsa_uses_dynamic_stack 0
		.amdhsa_enable_private_segment 0
		.amdhsa_system_sgpr_workgroup_id_x 1
		.amdhsa_system_sgpr_workgroup_id_y 0
		.amdhsa_system_sgpr_workgroup_id_z 0
		.amdhsa_system_sgpr_workgroup_info 0
		.amdhsa_system_vgpr_workitem_id 0
		.amdhsa_next_free_vgpr 1
		.amdhsa_next_free_sgpr 0
		.amdhsa_accum_offset 4
		.amdhsa_reserve_vcc 0
		.amdhsa_float_round_mode_32 0
		.amdhsa_float_round_mode_16_64 0
		.amdhsa_float_denorm_mode_32 3
		.amdhsa_float_denorm_mode_16_64 3
		.amdhsa_dx10_clamp 1
		.amdhsa_ieee_mode 1
		.amdhsa_fp16_overflow 0
		.amdhsa_tg_split 0
		.amdhsa_exception_fp_ieee_invalid_op 0
		.amdhsa_exception_fp_denorm_src 0
		.amdhsa_exception_fp_ieee_div_zero 0
		.amdhsa_exception_fp_ieee_overflow 0
		.amdhsa_exception_fp_ieee_underflow 0
		.amdhsa_exception_fp_ieee_inexact 0
		.amdhsa_exception_int_div_zero 0
	.end_amdhsa_kernel
	.section	.text._ZN7rocprim17ROCPRIM_400000_NS6detail17trampoline_kernelINS0_14default_configENS1_25partition_config_selectorILNS1_17partition_subalgoE8EN6thrust23THRUST_200600_302600_NS5tupleIffNS7_9null_typeES9_S9_S9_S9_S9_S9_S9_EENS0_10empty_typeEbEEZZNS1_14partition_implILS5_8ELb0ES3_jNS7_6detail15normal_iteratorINS7_10device_ptrISA_EEEEPSB_PKSB_NS0_5tupleIJSI_SB_EEENSM_IJSJ_SJ_EEENS0_18inequality_wrapperINS7_8equal_toISA_EEEEPmJSB_EEE10hipError_tPvRmT3_T4_T5_T6_T7_T9_mT8_P12ihipStream_tbDpT10_ENKUlT_T0_E_clISt17integral_constantIbLb0EES1D_EEDaS18_S19_EUlS18_E_NS1_11comp_targetILNS1_3genE4ELNS1_11target_archE910ELNS1_3gpuE8ELNS1_3repE0EEENS1_30default_config_static_selectorELNS0_4arch9wavefront6targetE1EEEvT1_,"axG",@progbits,_ZN7rocprim17ROCPRIM_400000_NS6detail17trampoline_kernelINS0_14default_configENS1_25partition_config_selectorILNS1_17partition_subalgoE8EN6thrust23THRUST_200600_302600_NS5tupleIffNS7_9null_typeES9_S9_S9_S9_S9_S9_S9_EENS0_10empty_typeEbEEZZNS1_14partition_implILS5_8ELb0ES3_jNS7_6detail15normal_iteratorINS7_10device_ptrISA_EEEEPSB_PKSB_NS0_5tupleIJSI_SB_EEENSM_IJSJ_SJ_EEENS0_18inequality_wrapperINS7_8equal_toISA_EEEEPmJSB_EEE10hipError_tPvRmT3_T4_T5_T6_T7_T9_mT8_P12ihipStream_tbDpT10_ENKUlT_T0_E_clISt17integral_constantIbLb0EES1D_EEDaS18_S19_EUlS18_E_NS1_11comp_targetILNS1_3genE4ELNS1_11target_archE910ELNS1_3gpuE8ELNS1_3repE0EEENS1_30default_config_static_selectorELNS0_4arch9wavefront6targetE1EEEvT1_,comdat
.Lfunc_end96:
	.size	_ZN7rocprim17ROCPRIM_400000_NS6detail17trampoline_kernelINS0_14default_configENS1_25partition_config_selectorILNS1_17partition_subalgoE8EN6thrust23THRUST_200600_302600_NS5tupleIffNS7_9null_typeES9_S9_S9_S9_S9_S9_S9_EENS0_10empty_typeEbEEZZNS1_14partition_implILS5_8ELb0ES3_jNS7_6detail15normal_iteratorINS7_10device_ptrISA_EEEEPSB_PKSB_NS0_5tupleIJSI_SB_EEENSM_IJSJ_SJ_EEENS0_18inequality_wrapperINS7_8equal_toISA_EEEEPmJSB_EEE10hipError_tPvRmT3_T4_T5_T6_T7_T9_mT8_P12ihipStream_tbDpT10_ENKUlT_T0_E_clISt17integral_constantIbLb0EES1D_EEDaS18_S19_EUlS18_E_NS1_11comp_targetILNS1_3genE4ELNS1_11target_archE910ELNS1_3gpuE8ELNS1_3repE0EEENS1_30default_config_static_selectorELNS0_4arch9wavefront6targetE1EEEvT1_, .Lfunc_end96-_ZN7rocprim17ROCPRIM_400000_NS6detail17trampoline_kernelINS0_14default_configENS1_25partition_config_selectorILNS1_17partition_subalgoE8EN6thrust23THRUST_200600_302600_NS5tupleIffNS7_9null_typeES9_S9_S9_S9_S9_S9_S9_EENS0_10empty_typeEbEEZZNS1_14partition_implILS5_8ELb0ES3_jNS7_6detail15normal_iteratorINS7_10device_ptrISA_EEEEPSB_PKSB_NS0_5tupleIJSI_SB_EEENSM_IJSJ_SJ_EEENS0_18inequality_wrapperINS7_8equal_toISA_EEEEPmJSB_EEE10hipError_tPvRmT3_T4_T5_T6_T7_T9_mT8_P12ihipStream_tbDpT10_ENKUlT_T0_E_clISt17integral_constantIbLb0EES1D_EEDaS18_S19_EUlS18_E_NS1_11comp_targetILNS1_3genE4ELNS1_11target_archE910ELNS1_3gpuE8ELNS1_3repE0EEENS1_30default_config_static_selectorELNS0_4arch9wavefront6targetE1EEEvT1_
                                        ; -- End function
	.section	.AMDGPU.csdata,"",@progbits
; Kernel info:
; codeLenInByte = 0
; NumSgprs: 6
; NumVgprs: 0
; NumAgprs: 0
; TotalNumVgprs: 0
; ScratchSize: 0
; MemoryBound: 0
; FloatMode: 240
; IeeeMode: 1
; LDSByteSize: 0 bytes/workgroup (compile time only)
; SGPRBlocks: 0
; VGPRBlocks: 0
; NumSGPRsForWavesPerEU: 6
; NumVGPRsForWavesPerEU: 1
; AccumOffset: 4
; Occupancy: 8
; WaveLimiterHint : 0
; COMPUTE_PGM_RSRC2:SCRATCH_EN: 0
; COMPUTE_PGM_RSRC2:USER_SGPR: 2
; COMPUTE_PGM_RSRC2:TRAP_HANDLER: 0
; COMPUTE_PGM_RSRC2:TGID_X_EN: 1
; COMPUTE_PGM_RSRC2:TGID_Y_EN: 0
; COMPUTE_PGM_RSRC2:TGID_Z_EN: 0
; COMPUTE_PGM_RSRC2:TIDIG_COMP_CNT: 0
; COMPUTE_PGM_RSRC3_GFX90A:ACCUM_OFFSET: 0
; COMPUTE_PGM_RSRC3_GFX90A:TG_SPLIT: 0
	.section	.text._ZN7rocprim17ROCPRIM_400000_NS6detail17trampoline_kernelINS0_14default_configENS1_25partition_config_selectorILNS1_17partition_subalgoE8EN6thrust23THRUST_200600_302600_NS5tupleIffNS7_9null_typeES9_S9_S9_S9_S9_S9_S9_EENS0_10empty_typeEbEEZZNS1_14partition_implILS5_8ELb0ES3_jNS7_6detail15normal_iteratorINS7_10device_ptrISA_EEEEPSB_PKSB_NS0_5tupleIJSI_SB_EEENSM_IJSJ_SJ_EEENS0_18inequality_wrapperINS7_8equal_toISA_EEEEPmJSB_EEE10hipError_tPvRmT3_T4_T5_T6_T7_T9_mT8_P12ihipStream_tbDpT10_ENKUlT_T0_E_clISt17integral_constantIbLb0EES1D_EEDaS18_S19_EUlS18_E_NS1_11comp_targetILNS1_3genE3ELNS1_11target_archE908ELNS1_3gpuE7ELNS1_3repE0EEENS1_30default_config_static_selectorELNS0_4arch9wavefront6targetE1EEEvT1_,"axG",@progbits,_ZN7rocprim17ROCPRIM_400000_NS6detail17trampoline_kernelINS0_14default_configENS1_25partition_config_selectorILNS1_17partition_subalgoE8EN6thrust23THRUST_200600_302600_NS5tupleIffNS7_9null_typeES9_S9_S9_S9_S9_S9_S9_EENS0_10empty_typeEbEEZZNS1_14partition_implILS5_8ELb0ES3_jNS7_6detail15normal_iteratorINS7_10device_ptrISA_EEEEPSB_PKSB_NS0_5tupleIJSI_SB_EEENSM_IJSJ_SJ_EEENS0_18inequality_wrapperINS7_8equal_toISA_EEEEPmJSB_EEE10hipError_tPvRmT3_T4_T5_T6_T7_T9_mT8_P12ihipStream_tbDpT10_ENKUlT_T0_E_clISt17integral_constantIbLb0EES1D_EEDaS18_S19_EUlS18_E_NS1_11comp_targetILNS1_3genE3ELNS1_11target_archE908ELNS1_3gpuE7ELNS1_3repE0EEENS1_30default_config_static_selectorELNS0_4arch9wavefront6targetE1EEEvT1_,comdat
	.protected	_ZN7rocprim17ROCPRIM_400000_NS6detail17trampoline_kernelINS0_14default_configENS1_25partition_config_selectorILNS1_17partition_subalgoE8EN6thrust23THRUST_200600_302600_NS5tupleIffNS7_9null_typeES9_S9_S9_S9_S9_S9_S9_EENS0_10empty_typeEbEEZZNS1_14partition_implILS5_8ELb0ES3_jNS7_6detail15normal_iteratorINS7_10device_ptrISA_EEEEPSB_PKSB_NS0_5tupleIJSI_SB_EEENSM_IJSJ_SJ_EEENS0_18inequality_wrapperINS7_8equal_toISA_EEEEPmJSB_EEE10hipError_tPvRmT3_T4_T5_T6_T7_T9_mT8_P12ihipStream_tbDpT10_ENKUlT_T0_E_clISt17integral_constantIbLb0EES1D_EEDaS18_S19_EUlS18_E_NS1_11comp_targetILNS1_3genE3ELNS1_11target_archE908ELNS1_3gpuE7ELNS1_3repE0EEENS1_30default_config_static_selectorELNS0_4arch9wavefront6targetE1EEEvT1_ ; -- Begin function _ZN7rocprim17ROCPRIM_400000_NS6detail17trampoline_kernelINS0_14default_configENS1_25partition_config_selectorILNS1_17partition_subalgoE8EN6thrust23THRUST_200600_302600_NS5tupleIffNS7_9null_typeES9_S9_S9_S9_S9_S9_S9_EENS0_10empty_typeEbEEZZNS1_14partition_implILS5_8ELb0ES3_jNS7_6detail15normal_iteratorINS7_10device_ptrISA_EEEEPSB_PKSB_NS0_5tupleIJSI_SB_EEENSM_IJSJ_SJ_EEENS0_18inequality_wrapperINS7_8equal_toISA_EEEEPmJSB_EEE10hipError_tPvRmT3_T4_T5_T6_T7_T9_mT8_P12ihipStream_tbDpT10_ENKUlT_T0_E_clISt17integral_constantIbLb0EES1D_EEDaS18_S19_EUlS18_E_NS1_11comp_targetILNS1_3genE3ELNS1_11target_archE908ELNS1_3gpuE7ELNS1_3repE0EEENS1_30default_config_static_selectorELNS0_4arch9wavefront6targetE1EEEvT1_
	.globl	_ZN7rocprim17ROCPRIM_400000_NS6detail17trampoline_kernelINS0_14default_configENS1_25partition_config_selectorILNS1_17partition_subalgoE8EN6thrust23THRUST_200600_302600_NS5tupleIffNS7_9null_typeES9_S9_S9_S9_S9_S9_S9_EENS0_10empty_typeEbEEZZNS1_14partition_implILS5_8ELb0ES3_jNS7_6detail15normal_iteratorINS7_10device_ptrISA_EEEEPSB_PKSB_NS0_5tupleIJSI_SB_EEENSM_IJSJ_SJ_EEENS0_18inequality_wrapperINS7_8equal_toISA_EEEEPmJSB_EEE10hipError_tPvRmT3_T4_T5_T6_T7_T9_mT8_P12ihipStream_tbDpT10_ENKUlT_T0_E_clISt17integral_constantIbLb0EES1D_EEDaS18_S19_EUlS18_E_NS1_11comp_targetILNS1_3genE3ELNS1_11target_archE908ELNS1_3gpuE7ELNS1_3repE0EEENS1_30default_config_static_selectorELNS0_4arch9wavefront6targetE1EEEvT1_
	.p2align	8
	.type	_ZN7rocprim17ROCPRIM_400000_NS6detail17trampoline_kernelINS0_14default_configENS1_25partition_config_selectorILNS1_17partition_subalgoE8EN6thrust23THRUST_200600_302600_NS5tupleIffNS7_9null_typeES9_S9_S9_S9_S9_S9_S9_EENS0_10empty_typeEbEEZZNS1_14partition_implILS5_8ELb0ES3_jNS7_6detail15normal_iteratorINS7_10device_ptrISA_EEEEPSB_PKSB_NS0_5tupleIJSI_SB_EEENSM_IJSJ_SJ_EEENS0_18inequality_wrapperINS7_8equal_toISA_EEEEPmJSB_EEE10hipError_tPvRmT3_T4_T5_T6_T7_T9_mT8_P12ihipStream_tbDpT10_ENKUlT_T0_E_clISt17integral_constantIbLb0EES1D_EEDaS18_S19_EUlS18_E_NS1_11comp_targetILNS1_3genE3ELNS1_11target_archE908ELNS1_3gpuE7ELNS1_3repE0EEENS1_30default_config_static_selectorELNS0_4arch9wavefront6targetE1EEEvT1_,@function
_ZN7rocprim17ROCPRIM_400000_NS6detail17trampoline_kernelINS0_14default_configENS1_25partition_config_selectorILNS1_17partition_subalgoE8EN6thrust23THRUST_200600_302600_NS5tupleIffNS7_9null_typeES9_S9_S9_S9_S9_S9_S9_EENS0_10empty_typeEbEEZZNS1_14partition_implILS5_8ELb0ES3_jNS7_6detail15normal_iteratorINS7_10device_ptrISA_EEEEPSB_PKSB_NS0_5tupleIJSI_SB_EEENSM_IJSJ_SJ_EEENS0_18inequality_wrapperINS7_8equal_toISA_EEEEPmJSB_EEE10hipError_tPvRmT3_T4_T5_T6_T7_T9_mT8_P12ihipStream_tbDpT10_ENKUlT_T0_E_clISt17integral_constantIbLb0EES1D_EEDaS18_S19_EUlS18_E_NS1_11comp_targetILNS1_3genE3ELNS1_11target_archE908ELNS1_3gpuE7ELNS1_3repE0EEENS1_30default_config_static_selectorELNS0_4arch9wavefront6targetE1EEEvT1_: ; @_ZN7rocprim17ROCPRIM_400000_NS6detail17trampoline_kernelINS0_14default_configENS1_25partition_config_selectorILNS1_17partition_subalgoE8EN6thrust23THRUST_200600_302600_NS5tupleIffNS7_9null_typeES9_S9_S9_S9_S9_S9_S9_EENS0_10empty_typeEbEEZZNS1_14partition_implILS5_8ELb0ES3_jNS7_6detail15normal_iteratorINS7_10device_ptrISA_EEEEPSB_PKSB_NS0_5tupleIJSI_SB_EEENSM_IJSJ_SJ_EEENS0_18inequality_wrapperINS7_8equal_toISA_EEEEPmJSB_EEE10hipError_tPvRmT3_T4_T5_T6_T7_T9_mT8_P12ihipStream_tbDpT10_ENKUlT_T0_E_clISt17integral_constantIbLb0EES1D_EEDaS18_S19_EUlS18_E_NS1_11comp_targetILNS1_3genE3ELNS1_11target_archE908ELNS1_3gpuE7ELNS1_3repE0EEENS1_30default_config_static_selectorELNS0_4arch9wavefront6targetE1EEEvT1_
; %bb.0:
	.section	.rodata,"a",@progbits
	.p2align	6, 0x0
	.amdhsa_kernel _ZN7rocprim17ROCPRIM_400000_NS6detail17trampoline_kernelINS0_14default_configENS1_25partition_config_selectorILNS1_17partition_subalgoE8EN6thrust23THRUST_200600_302600_NS5tupleIffNS7_9null_typeES9_S9_S9_S9_S9_S9_S9_EENS0_10empty_typeEbEEZZNS1_14partition_implILS5_8ELb0ES3_jNS7_6detail15normal_iteratorINS7_10device_ptrISA_EEEEPSB_PKSB_NS0_5tupleIJSI_SB_EEENSM_IJSJ_SJ_EEENS0_18inequality_wrapperINS7_8equal_toISA_EEEEPmJSB_EEE10hipError_tPvRmT3_T4_T5_T6_T7_T9_mT8_P12ihipStream_tbDpT10_ENKUlT_T0_E_clISt17integral_constantIbLb0EES1D_EEDaS18_S19_EUlS18_E_NS1_11comp_targetILNS1_3genE3ELNS1_11target_archE908ELNS1_3gpuE7ELNS1_3repE0EEENS1_30default_config_static_selectorELNS0_4arch9wavefront6targetE1EEEvT1_
		.amdhsa_group_segment_fixed_size 0
		.amdhsa_private_segment_fixed_size 0
		.amdhsa_kernarg_size 112
		.amdhsa_user_sgpr_count 2
		.amdhsa_user_sgpr_dispatch_ptr 0
		.amdhsa_user_sgpr_queue_ptr 0
		.amdhsa_user_sgpr_kernarg_segment_ptr 1
		.amdhsa_user_sgpr_dispatch_id 0
		.amdhsa_user_sgpr_kernarg_preload_length 0
		.amdhsa_user_sgpr_kernarg_preload_offset 0
		.amdhsa_user_sgpr_private_segment_size 0
		.amdhsa_uses_dynamic_stack 0
		.amdhsa_enable_private_segment 0
		.amdhsa_system_sgpr_workgroup_id_x 1
		.amdhsa_system_sgpr_workgroup_id_y 0
		.amdhsa_system_sgpr_workgroup_id_z 0
		.amdhsa_system_sgpr_workgroup_info 0
		.amdhsa_system_vgpr_workitem_id 0
		.amdhsa_next_free_vgpr 1
		.amdhsa_next_free_sgpr 0
		.amdhsa_accum_offset 4
		.amdhsa_reserve_vcc 0
		.amdhsa_float_round_mode_32 0
		.amdhsa_float_round_mode_16_64 0
		.amdhsa_float_denorm_mode_32 3
		.amdhsa_float_denorm_mode_16_64 3
		.amdhsa_dx10_clamp 1
		.amdhsa_ieee_mode 1
		.amdhsa_fp16_overflow 0
		.amdhsa_tg_split 0
		.amdhsa_exception_fp_ieee_invalid_op 0
		.amdhsa_exception_fp_denorm_src 0
		.amdhsa_exception_fp_ieee_div_zero 0
		.amdhsa_exception_fp_ieee_overflow 0
		.amdhsa_exception_fp_ieee_underflow 0
		.amdhsa_exception_fp_ieee_inexact 0
		.amdhsa_exception_int_div_zero 0
	.end_amdhsa_kernel
	.section	.text._ZN7rocprim17ROCPRIM_400000_NS6detail17trampoline_kernelINS0_14default_configENS1_25partition_config_selectorILNS1_17partition_subalgoE8EN6thrust23THRUST_200600_302600_NS5tupleIffNS7_9null_typeES9_S9_S9_S9_S9_S9_S9_EENS0_10empty_typeEbEEZZNS1_14partition_implILS5_8ELb0ES3_jNS7_6detail15normal_iteratorINS7_10device_ptrISA_EEEEPSB_PKSB_NS0_5tupleIJSI_SB_EEENSM_IJSJ_SJ_EEENS0_18inequality_wrapperINS7_8equal_toISA_EEEEPmJSB_EEE10hipError_tPvRmT3_T4_T5_T6_T7_T9_mT8_P12ihipStream_tbDpT10_ENKUlT_T0_E_clISt17integral_constantIbLb0EES1D_EEDaS18_S19_EUlS18_E_NS1_11comp_targetILNS1_3genE3ELNS1_11target_archE908ELNS1_3gpuE7ELNS1_3repE0EEENS1_30default_config_static_selectorELNS0_4arch9wavefront6targetE1EEEvT1_,"axG",@progbits,_ZN7rocprim17ROCPRIM_400000_NS6detail17trampoline_kernelINS0_14default_configENS1_25partition_config_selectorILNS1_17partition_subalgoE8EN6thrust23THRUST_200600_302600_NS5tupleIffNS7_9null_typeES9_S9_S9_S9_S9_S9_S9_EENS0_10empty_typeEbEEZZNS1_14partition_implILS5_8ELb0ES3_jNS7_6detail15normal_iteratorINS7_10device_ptrISA_EEEEPSB_PKSB_NS0_5tupleIJSI_SB_EEENSM_IJSJ_SJ_EEENS0_18inequality_wrapperINS7_8equal_toISA_EEEEPmJSB_EEE10hipError_tPvRmT3_T4_T5_T6_T7_T9_mT8_P12ihipStream_tbDpT10_ENKUlT_T0_E_clISt17integral_constantIbLb0EES1D_EEDaS18_S19_EUlS18_E_NS1_11comp_targetILNS1_3genE3ELNS1_11target_archE908ELNS1_3gpuE7ELNS1_3repE0EEENS1_30default_config_static_selectorELNS0_4arch9wavefront6targetE1EEEvT1_,comdat
.Lfunc_end97:
	.size	_ZN7rocprim17ROCPRIM_400000_NS6detail17trampoline_kernelINS0_14default_configENS1_25partition_config_selectorILNS1_17partition_subalgoE8EN6thrust23THRUST_200600_302600_NS5tupleIffNS7_9null_typeES9_S9_S9_S9_S9_S9_S9_EENS0_10empty_typeEbEEZZNS1_14partition_implILS5_8ELb0ES3_jNS7_6detail15normal_iteratorINS7_10device_ptrISA_EEEEPSB_PKSB_NS0_5tupleIJSI_SB_EEENSM_IJSJ_SJ_EEENS0_18inequality_wrapperINS7_8equal_toISA_EEEEPmJSB_EEE10hipError_tPvRmT3_T4_T5_T6_T7_T9_mT8_P12ihipStream_tbDpT10_ENKUlT_T0_E_clISt17integral_constantIbLb0EES1D_EEDaS18_S19_EUlS18_E_NS1_11comp_targetILNS1_3genE3ELNS1_11target_archE908ELNS1_3gpuE7ELNS1_3repE0EEENS1_30default_config_static_selectorELNS0_4arch9wavefront6targetE1EEEvT1_, .Lfunc_end97-_ZN7rocprim17ROCPRIM_400000_NS6detail17trampoline_kernelINS0_14default_configENS1_25partition_config_selectorILNS1_17partition_subalgoE8EN6thrust23THRUST_200600_302600_NS5tupleIffNS7_9null_typeES9_S9_S9_S9_S9_S9_S9_EENS0_10empty_typeEbEEZZNS1_14partition_implILS5_8ELb0ES3_jNS7_6detail15normal_iteratorINS7_10device_ptrISA_EEEEPSB_PKSB_NS0_5tupleIJSI_SB_EEENSM_IJSJ_SJ_EEENS0_18inequality_wrapperINS7_8equal_toISA_EEEEPmJSB_EEE10hipError_tPvRmT3_T4_T5_T6_T7_T9_mT8_P12ihipStream_tbDpT10_ENKUlT_T0_E_clISt17integral_constantIbLb0EES1D_EEDaS18_S19_EUlS18_E_NS1_11comp_targetILNS1_3genE3ELNS1_11target_archE908ELNS1_3gpuE7ELNS1_3repE0EEENS1_30default_config_static_selectorELNS0_4arch9wavefront6targetE1EEEvT1_
                                        ; -- End function
	.section	.AMDGPU.csdata,"",@progbits
; Kernel info:
; codeLenInByte = 0
; NumSgprs: 6
; NumVgprs: 0
; NumAgprs: 0
; TotalNumVgprs: 0
; ScratchSize: 0
; MemoryBound: 0
; FloatMode: 240
; IeeeMode: 1
; LDSByteSize: 0 bytes/workgroup (compile time only)
; SGPRBlocks: 0
; VGPRBlocks: 0
; NumSGPRsForWavesPerEU: 6
; NumVGPRsForWavesPerEU: 1
; AccumOffset: 4
; Occupancy: 8
; WaveLimiterHint : 0
; COMPUTE_PGM_RSRC2:SCRATCH_EN: 0
; COMPUTE_PGM_RSRC2:USER_SGPR: 2
; COMPUTE_PGM_RSRC2:TRAP_HANDLER: 0
; COMPUTE_PGM_RSRC2:TGID_X_EN: 1
; COMPUTE_PGM_RSRC2:TGID_Y_EN: 0
; COMPUTE_PGM_RSRC2:TGID_Z_EN: 0
; COMPUTE_PGM_RSRC2:TIDIG_COMP_CNT: 0
; COMPUTE_PGM_RSRC3_GFX90A:ACCUM_OFFSET: 0
; COMPUTE_PGM_RSRC3_GFX90A:TG_SPLIT: 0
	.section	.text._ZN7rocprim17ROCPRIM_400000_NS6detail17trampoline_kernelINS0_14default_configENS1_25partition_config_selectorILNS1_17partition_subalgoE8EN6thrust23THRUST_200600_302600_NS5tupleIffNS7_9null_typeES9_S9_S9_S9_S9_S9_S9_EENS0_10empty_typeEbEEZZNS1_14partition_implILS5_8ELb0ES3_jNS7_6detail15normal_iteratorINS7_10device_ptrISA_EEEEPSB_PKSB_NS0_5tupleIJSI_SB_EEENSM_IJSJ_SJ_EEENS0_18inequality_wrapperINS7_8equal_toISA_EEEEPmJSB_EEE10hipError_tPvRmT3_T4_T5_T6_T7_T9_mT8_P12ihipStream_tbDpT10_ENKUlT_T0_E_clISt17integral_constantIbLb0EES1D_EEDaS18_S19_EUlS18_E_NS1_11comp_targetILNS1_3genE2ELNS1_11target_archE906ELNS1_3gpuE6ELNS1_3repE0EEENS1_30default_config_static_selectorELNS0_4arch9wavefront6targetE1EEEvT1_,"axG",@progbits,_ZN7rocprim17ROCPRIM_400000_NS6detail17trampoline_kernelINS0_14default_configENS1_25partition_config_selectorILNS1_17partition_subalgoE8EN6thrust23THRUST_200600_302600_NS5tupleIffNS7_9null_typeES9_S9_S9_S9_S9_S9_S9_EENS0_10empty_typeEbEEZZNS1_14partition_implILS5_8ELb0ES3_jNS7_6detail15normal_iteratorINS7_10device_ptrISA_EEEEPSB_PKSB_NS0_5tupleIJSI_SB_EEENSM_IJSJ_SJ_EEENS0_18inequality_wrapperINS7_8equal_toISA_EEEEPmJSB_EEE10hipError_tPvRmT3_T4_T5_T6_T7_T9_mT8_P12ihipStream_tbDpT10_ENKUlT_T0_E_clISt17integral_constantIbLb0EES1D_EEDaS18_S19_EUlS18_E_NS1_11comp_targetILNS1_3genE2ELNS1_11target_archE906ELNS1_3gpuE6ELNS1_3repE0EEENS1_30default_config_static_selectorELNS0_4arch9wavefront6targetE1EEEvT1_,comdat
	.protected	_ZN7rocprim17ROCPRIM_400000_NS6detail17trampoline_kernelINS0_14default_configENS1_25partition_config_selectorILNS1_17partition_subalgoE8EN6thrust23THRUST_200600_302600_NS5tupleIffNS7_9null_typeES9_S9_S9_S9_S9_S9_S9_EENS0_10empty_typeEbEEZZNS1_14partition_implILS5_8ELb0ES3_jNS7_6detail15normal_iteratorINS7_10device_ptrISA_EEEEPSB_PKSB_NS0_5tupleIJSI_SB_EEENSM_IJSJ_SJ_EEENS0_18inequality_wrapperINS7_8equal_toISA_EEEEPmJSB_EEE10hipError_tPvRmT3_T4_T5_T6_T7_T9_mT8_P12ihipStream_tbDpT10_ENKUlT_T0_E_clISt17integral_constantIbLb0EES1D_EEDaS18_S19_EUlS18_E_NS1_11comp_targetILNS1_3genE2ELNS1_11target_archE906ELNS1_3gpuE6ELNS1_3repE0EEENS1_30default_config_static_selectorELNS0_4arch9wavefront6targetE1EEEvT1_ ; -- Begin function _ZN7rocprim17ROCPRIM_400000_NS6detail17trampoline_kernelINS0_14default_configENS1_25partition_config_selectorILNS1_17partition_subalgoE8EN6thrust23THRUST_200600_302600_NS5tupleIffNS7_9null_typeES9_S9_S9_S9_S9_S9_S9_EENS0_10empty_typeEbEEZZNS1_14partition_implILS5_8ELb0ES3_jNS7_6detail15normal_iteratorINS7_10device_ptrISA_EEEEPSB_PKSB_NS0_5tupleIJSI_SB_EEENSM_IJSJ_SJ_EEENS0_18inequality_wrapperINS7_8equal_toISA_EEEEPmJSB_EEE10hipError_tPvRmT3_T4_T5_T6_T7_T9_mT8_P12ihipStream_tbDpT10_ENKUlT_T0_E_clISt17integral_constantIbLb0EES1D_EEDaS18_S19_EUlS18_E_NS1_11comp_targetILNS1_3genE2ELNS1_11target_archE906ELNS1_3gpuE6ELNS1_3repE0EEENS1_30default_config_static_selectorELNS0_4arch9wavefront6targetE1EEEvT1_
	.globl	_ZN7rocprim17ROCPRIM_400000_NS6detail17trampoline_kernelINS0_14default_configENS1_25partition_config_selectorILNS1_17partition_subalgoE8EN6thrust23THRUST_200600_302600_NS5tupleIffNS7_9null_typeES9_S9_S9_S9_S9_S9_S9_EENS0_10empty_typeEbEEZZNS1_14partition_implILS5_8ELb0ES3_jNS7_6detail15normal_iteratorINS7_10device_ptrISA_EEEEPSB_PKSB_NS0_5tupleIJSI_SB_EEENSM_IJSJ_SJ_EEENS0_18inequality_wrapperINS7_8equal_toISA_EEEEPmJSB_EEE10hipError_tPvRmT3_T4_T5_T6_T7_T9_mT8_P12ihipStream_tbDpT10_ENKUlT_T0_E_clISt17integral_constantIbLb0EES1D_EEDaS18_S19_EUlS18_E_NS1_11comp_targetILNS1_3genE2ELNS1_11target_archE906ELNS1_3gpuE6ELNS1_3repE0EEENS1_30default_config_static_selectorELNS0_4arch9wavefront6targetE1EEEvT1_
	.p2align	8
	.type	_ZN7rocprim17ROCPRIM_400000_NS6detail17trampoline_kernelINS0_14default_configENS1_25partition_config_selectorILNS1_17partition_subalgoE8EN6thrust23THRUST_200600_302600_NS5tupleIffNS7_9null_typeES9_S9_S9_S9_S9_S9_S9_EENS0_10empty_typeEbEEZZNS1_14partition_implILS5_8ELb0ES3_jNS7_6detail15normal_iteratorINS7_10device_ptrISA_EEEEPSB_PKSB_NS0_5tupleIJSI_SB_EEENSM_IJSJ_SJ_EEENS0_18inequality_wrapperINS7_8equal_toISA_EEEEPmJSB_EEE10hipError_tPvRmT3_T4_T5_T6_T7_T9_mT8_P12ihipStream_tbDpT10_ENKUlT_T0_E_clISt17integral_constantIbLb0EES1D_EEDaS18_S19_EUlS18_E_NS1_11comp_targetILNS1_3genE2ELNS1_11target_archE906ELNS1_3gpuE6ELNS1_3repE0EEENS1_30default_config_static_selectorELNS0_4arch9wavefront6targetE1EEEvT1_,@function
_ZN7rocprim17ROCPRIM_400000_NS6detail17trampoline_kernelINS0_14default_configENS1_25partition_config_selectorILNS1_17partition_subalgoE8EN6thrust23THRUST_200600_302600_NS5tupleIffNS7_9null_typeES9_S9_S9_S9_S9_S9_S9_EENS0_10empty_typeEbEEZZNS1_14partition_implILS5_8ELb0ES3_jNS7_6detail15normal_iteratorINS7_10device_ptrISA_EEEEPSB_PKSB_NS0_5tupleIJSI_SB_EEENSM_IJSJ_SJ_EEENS0_18inequality_wrapperINS7_8equal_toISA_EEEEPmJSB_EEE10hipError_tPvRmT3_T4_T5_T6_T7_T9_mT8_P12ihipStream_tbDpT10_ENKUlT_T0_E_clISt17integral_constantIbLb0EES1D_EEDaS18_S19_EUlS18_E_NS1_11comp_targetILNS1_3genE2ELNS1_11target_archE906ELNS1_3gpuE6ELNS1_3repE0EEENS1_30default_config_static_selectorELNS0_4arch9wavefront6targetE1EEEvT1_: ; @_ZN7rocprim17ROCPRIM_400000_NS6detail17trampoline_kernelINS0_14default_configENS1_25partition_config_selectorILNS1_17partition_subalgoE8EN6thrust23THRUST_200600_302600_NS5tupleIffNS7_9null_typeES9_S9_S9_S9_S9_S9_S9_EENS0_10empty_typeEbEEZZNS1_14partition_implILS5_8ELb0ES3_jNS7_6detail15normal_iteratorINS7_10device_ptrISA_EEEEPSB_PKSB_NS0_5tupleIJSI_SB_EEENSM_IJSJ_SJ_EEENS0_18inequality_wrapperINS7_8equal_toISA_EEEEPmJSB_EEE10hipError_tPvRmT3_T4_T5_T6_T7_T9_mT8_P12ihipStream_tbDpT10_ENKUlT_T0_E_clISt17integral_constantIbLb0EES1D_EEDaS18_S19_EUlS18_E_NS1_11comp_targetILNS1_3genE2ELNS1_11target_archE906ELNS1_3gpuE6ELNS1_3repE0EEENS1_30default_config_static_selectorELNS0_4arch9wavefront6targetE1EEEvT1_
; %bb.0:
	.section	.rodata,"a",@progbits
	.p2align	6, 0x0
	.amdhsa_kernel _ZN7rocprim17ROCPRIM_400000_NS6detail17trampoline_kernelINS0_14default_configENS1_25partition_config_selectorILNS1_17partition_subalgoE8EN6thrust23THRUST_200600_302600_NS5tupleIffNS7_9null_typeES9_S9_S9_S9_S9_S9_S9_EENS0_10empty_typeEbEEZZNS1_14partition_implILS5_8ELb0ES3_jNS7_6detail15normal_iteratorINS7_10device_ptrISA_EEEEPSB_PKSB_NS0_5tupleIJSI_SB_EEENSM_IJSJ_SJ_EEENS0_18inequality_wrapperINS7_8equal_toISA_EEEEPmJSB_EEE10hipError_tPvRmT3_T4_T5_T6_T7_T9_mT8_P12ihipStream_tbDpT10_ENKUlT_T0_E_clISt17integral_constantIbLb0EES1D_EEDaS18_S19_EUlS18_E_NS1_11comp_targetILNS1_3genE2ELNS1_11target_archE906ELNS1_3gpuE6ELNS1_3repE0EEENS1_30default_config_static_selectorELNS0_4arch9wavefront6targetE1EEEvT1_
		.amdhsa_group_segment_fixed_size 0
		.amdhsa_private_segment_fixed_size 0
		.amdhsa_kernarg_size 112
		.amdhsa_user_sgpr_count 2
		.amdhsa_user_sgpr_dispatch_ptr 0
		.amdhsa_user_sgpr_queue_ptr 0
		.amdhsa_user_sgpr_kernarg_segment_ptr 1
		.amdhsa_user_sgpr_dispatch_id 0
		.amdhsa_user_sgpr_kernarg_preload_length 0
		.amdhsa_user_sgpr_kernarg_preload_offset 0
		.amdhsa_user_sgpr_private_segment_size 0
		.amdhsa_uses_dynamic_stack 0
		.amdhsa_enable_private_segment 0
		.amdhsa_system_sgpr_workgroup_id_x 1
		.amdhsa_system_sgpr_workgroup_id_y 0
		.amdhsa_system_sgpr_workgroup_id_z 0
		.amdhsa_system_sgpr_workgroup_info 0
		.amdhsa_system_vgpr_workitem_id 0
		.amdhsa_next_free_vgpr 1
		.amdhsa_next_free_sgpr 0
		.amdhsa_accum_offset 4
		.amdhsa_reserve_vcc 0
		.amdhsa_float_round_mode_32 0
		.amdhsa_float_round_mode_16_64 0
		.amdhsa_float_denorm_mode_32 3
		.amdhsa_float_denorm_mode_16_64 3
		.amdhsa_dx10_clamp 1
		.amdhsa_ieee_mode 1
		.amdhsa_fp16_overflow 0
		.amdhsa_tg_split 0
		.amdhsa_exception_fp_ieee_invalid_op 0
		.amdhsa_exception_fp_denorm_src 0
		.amdhsa_exception_fp_ieee_div_zero 0
		.amdhsa_exception_fp_ieee_overflow 0
		.amdhsa_exception_fp_ieee_underflow 0
		.amdhsa_exception_fp_ieee_inexact 0
		.amdhsa_exception_int_div_zero 0
	.end_amdhsa_kernel
	.section	.text._ZN7rocprim17ROCPRIM_400000_NS6detail17trampoline_kernelINS0_14default_configENS1_25partition_config_selectorILNS1_17partition_subalgoE8EN6thrust23THRUST_200600_302600_NS5tupleIffNS7_9null_typeES9_S9_S9_S9_S9_S9_S9_EENS0_10empty_typeEbEEZZNS1_14partition_implILS5_8ELb0ES3_jNS7_6detail15normal_iteratorINS7_10device_ptrISA_EEEEPSB_PKSB_NS0_5tupleIJSI_SB_EEENSM_IJSJ_SJ_EEENS0_18inequality_wrapperINS7_8equal_toISA_EEEEPmJSB_EEE10hipError_tPvRmT3_T4_T5_T6_T7_T9_mT8_P12ihipStream_tbDpT10_ENKUlT_T0_E_clISt17integral_constantIbLb0EES1D_EEDaS18_S19_EUlS18_E_NS1_11comp_targetILNS1_3genE2ELNS1_11target_archE906ELNS1_3gpuE6ELNS1_3repE0EEENS1_30default_config_static_selectorELNS0_4arch9wavefront6targetE1EEEvT1_,"axG",@progbits,_ZN7rocprim17ROCPRIM_400000_NS6detail17trampoline_kernelINS0_14default_configENS1_25partition_config_selectorILNS1_17partition_subalgoE8EN6thrust23THRUST_200600_302600_NS5tupleIffNS7_9null_typeES9_S9_S9_S9_S9_S9_S9_EENS0_10empty_typeEbEEZZNS1_14partition_implILS5_8ELb0ES3_jNS7_6detail15normal_iteratorINS7_10device_ptrISA_EEEEPSB_PKSB_NS0_5tupleIJSI_SB_EEENSM_IJSJ_SJ_EEENS0_18inequality_wrapperINS7_8equal_toISA_EEEEPmJSB_EEE10hipError_tPvRmT3_T4_T5_T6_T7_T9_mT8_P12ihipStream_tbDpT10_ENKUlT_T0_E_clISt17integral_constantIbLb0EES1D_EEDaS18_S19_EUlS18_E_NS1_11comp_targetILNS1_3genE2ELNS1_11target_archE906ELNS1_3gpuE6ELNS1_3repE0EEENS1_30default_config_static_selectorELNS0_4arch9wavefront6targetE1EEEvT1_,comdat
.Lfunc_end98:
	.size	_ZN7rocprim17ROCPRIM_400000_NS6detail17trampoline_kernelINS0_14default_configENS1_25partition_config_selectorILNS1_17partition_subalgoE8EN6thrust23THRUST_200600_302600_NS5tupleIffNS7_9null_typeES9_S9_S9_S9_S9_S9_S9_EENS0_10empty_typeEbEEZZNS1_14partition_implILS5_8ELb0ES3_jNS7_6detail15normal_iteratorINS7_10device_ptrISA_EEEEPSB_PKSB_NS0_5tupleIJSI_SB_EEENSM_IJSJ_SJ_EEENS0_18inequality_wrapperINS7_8equal_toISA_EEEEPmJSB_EEE10hipError_tPvRmT3_T4_T5_T6_T7_T9_mT8_P12ihipStream_tbDpT10_ENKUlT_T0_E_clISt17integral_constantIbLb0EES1D_EEDaS18_S19_EUlS18_E_NS1_11comp_targetILNS1_3genE2ELNS1_11target_archE906ELNS1_3gpuE6ELNS1_3repE0EEENS1_30default_config_static_selectorELNS0_4arch9wavefront6targetE1EEEvT1_, .Lfunc_end98-_ZN7rocprim17ROCPRIM_400000_NS6detail17trampoline_kernelINS0_14default_configENS1_25partition_config_selectorILNS1_17partition_subalgoE8EN6thrust23THRUST_200600_302600_NS5tupleIffNS7_9null_typeES9_S9_S9_S9_S9_S9_S9_EENS0_10empty_typeEbEEZZNS1_14partition_implILS5_8ELb0ES3_jNS7_6detail15normal_iteratorINS7_10device_ptrISA_EEEEPSB_PKSB_NS0_5tupleIJSI_SB_EEENSM_IJSJ_SJ_EEENS0_18inequality_wrapperINS7_8equal_toISA_EEEEPmJSB_EEE10hipError_tPvRmT3_T4_T5_T6_T7_T9_mT8_P12ihipStream_tbDpT10_ENKUlT_T0_E_clISt17integral_constantIbLb0EES1D_EEDaS18_S19_EUlS18_E_NS1_11comp_targetILNS1_3genE2ELNS1_11target_archE906ELNS1_3gpuE6ELNS1_3repE0EEENS1_30default_config_static_selectorELNS0_4arch9wavefront6targetE1EEEvT1_
                                        ; -- End function
	.section	.AMDGPU.csdata,"",@progbits
; Kernel info:
; codeLenInByte = 0
; NumSgprs: 6
; NumVgprs: 0
; NumAgprs: 0
; TotalNumVgprs: 0
; ScratchSize: 0
; MemoryBound: 0
; FloatMode: 240
; IeeeMode: 1
; LDSByteSize: 0 bytes/workgroup (compile time only)
; SGPRBlocks: 0
; VGPRBlocks: 0
; NumSGPRsForWavesPerEU: 6
; NumVGPRsForWavesPerEU: 1
; AccumOffset: 4
; Occupancy: 8
; WaveLimiterHint : 0
; COMPUTE_PGM_RSRC2:SCRATCH_EN: 0
; COMPUTE_PGM_RSRC2:USER_SGPR: 2
; COMPUTE_PGM_RSRC2:TRAP_HANDLER: 0
; COMPUTE_PGM_RSRC2:TGID_X_EN: 1
; COMPUTE_PGM_RSRC2:TGID_Y_EN: 0
; COMPUTE_PGM_RSRC2:TGID_Z_EN: 0
; COMPUTE_PGM_RSRC2:TIDIG_COMP_CNT: 0
; COMPUTE_PGM_RSRC3_GFX90A:ACCUM_OFFSET: 0
; COMPUTE_PGM_RSRC3_GFX90A:TG_SPLIT: 0
	.section	.text._ZN7rocprim17ROCPRIM_400000_NS6detail17trampoline_kernelINS0_14default_configENS1_25partition_config_selectorILNS1_17partition_subalgoE8EN6thrust23THRUST_200600_302600_NS5tupleIffNS7_9null_typeES9_S9_S9_S9_S9_S9_S9_EENS0_10empty_typeEbEEZZNS1_14partition_implILS5_8ELb0ES3_jNS7_6detail15normal_iteratorINS7_10device_ptrISA_EEEEPSB_PKSB_NS0_5tupleIJSI_SB_EEENSM_IJSJ_SJ_EEENS0_18inequality_wrapperINS7_8equal_toISA_EEEEPmJSB_EEE10hipError_tPvRmT3_T4_T5_T6_T7_T9_mT8_P12ihipStream_tbDpT10_ENKUlT_T0_E_clISt17integral_constantIbLb0EES1D_EEDaS18_S19_EUlS18_E_NS1_11comp_targetILNS1_3genE10ELNS1_11target_archE1200ELNS1_3gpuE4ELNS1_3repE0EEENS1_30default_config_static_selectorELNS0_4arch9wavefront6targetE1EEEvT1_,"axG",@progbits,_ZN7rocprim17ROCPRIM_400000_NS6detail17trampoline_kernelINS0_14default_configENS1_25partition_config_selectorILNS1_17partition_subalgoE8EN6thrust23THRUST_200600_302600_NS5tupleIffNS7_9null_typeES9_S9_S9_S9_S9_S9_S9_EENS0_10empty_typeEbEEZZNS1_14partition_implILS5_8ELb0ES3_jNS7_6detail15normal_iteratorINS7_10device_ptrISA_EEEEPSB_PKSB_NS0_5tupleIJSI_SB_EEENSM_IJSJ_SJ_EEENS0_18inequality_wrapperINS7_8equal_toISA_EEEEPmJSB_EEE10hipError_tPvRmT3_T4_T5_T6_T7_T9_mT8_P12ihipStream_tbDpT10_ENKUlT_T0_E_clISt17integral_constantIbLb0EES1D_EEDaS18_S19_EUlS18_E_NS1_11comp_targetILNS1_3genE10ELNS1_11target_archE1200ELNS1_3gpuE4ELNS1_3repE0EEENS1_30default_config_static_selectorELNS0_4arch9wavefront6targetE1EEEvT1_,comdat
	.protected	_ZN7rocprim17ROCPRIM_400000_NS6detail17trampoline_kernelINS0_14default_configENS1_25partition_config_selectorILNS1_17partition_subalgoE8EN6thrust23THRUST_200600_302600_NS5tupleIffNS7_9null_typeES9_S9_S9_S9_S9_S9_S9_EENS0_10empty_typeEbEEZZNS1_14partition_implILS5_8ELb0ES3_jNS7_6detail15normal_iteratorINS7_10device_ptrISA_EEEEPSB_PKSB_NS0_5tupleIJSI_SB_EEENSM_IJSJ_SJ_EEENS0_18inequality_wrapperINS7_8equal_toISA_EEEEPmJSB_EEE10hipError_tPvRmT3_T4_T5_T6_T7_T9_mT8_P12ihipStream_tbDpT10_ENKUlT_T0_E_clISt17integral_constantIbLb0EES1D_EEDaS18_S19_EUlS18_E_NS1_11comp_targetILNS1_3genE10ELNS1_11target_archE1200ELNS1_3gpuE4ELNS1_3repE0EEENS1_30default_config_static_selectorELNS0_4arch9wavefront6targetE1EEEvT1_ ; -- Begin function _ZN7rocprim17ROCPRIM_400000_NS6detail17trampoline_kernelINS0_14default_configENS1_25partition_config_selectorILNS1_17partition_subalgoE8EN6thrust23THRUST_200600_302600_NS5tupleIffNS7_9null_typeES9_S9_S9_S9_S9_S9_S9_EENS0_10empty_typeEbEEZZNS1_14partition_implILS5_8ELb0ES3_jNS7_6detail15normal_iteratorINS7_10device_ptrISA_EEEEPSB_PKSB_NS0_5tupleIJSI_SB_EEENSM_IJSJ_SJ_EEENS0_18inequality_wrapperINS7_8equal_toISA_EEEEPmJSB_EEE10hipError_tPvRmT3_T4_T5_T6_T7_T9_mT8_P12ihipStream_tbDpT10_ENKUlT_T0_E_clISt17integral_constantIbLb0EES1D_EEDaS18_S19_EUlS18_E_NS1_11comp_targetILNS1_3genE10ELNS1_11target_archE1200ELNS1_3gpuE4ELNS1_3repE0EEENS1_30default_config_static_selectorELNS0_4arch9wavefront6targetE1EEEvT1_
	.globl	_ZN7rocprim17ROCPRIM_400000_NS6detail17trampoline_kernelINS0_14default_configENS1_25partition_config_selectorILNS1_17partition_subalgoE8EN6thrust23THRUST_200600_302600_NS5tupleIffNS7_9null_typeES9_S9_S9_S9_S9_S9_S9_EENS0_10empty_typeEbEEZZNS1_14partition_implILS5_8ELb0ES3_jNS7_6detail15normal_iteratorINS7_10device_ptrISA_EEEEPSB_PKSB_NS0_5tupleIJSI_SB_EEENSM_IJSJ_SJ_EEENS0_18inequality_wrapperINS7_8equal_toISA_EEEEPmJSB_EEE10hipError_tPvRmT3_T4_T5_T6_T7_T9_mT8_P12ihipStream_tbDpT10_ENKUlT_T0_E_clISt17integral_constantIbLb0EES1D_EEDaS18_S19_EUlS18_E_NS1_11comp_targetILNS1_3genE10ELNS1_11target_archE1200ELNS1_3gpuE4ELNS1_3repE0EEENS1_30default_config_static_selectorELNS0_4arch9wavefront6targetE1EEEvT1_
	.p2align	8
	.type	_ZN7rocprim17ROCPRIM_400000_NS6detail17trampoline_kernelINS0_14default_configENS1_25partition_config_selectorILNS1_17partition_subalgoE8EN6thrust23THRUST_200600_302600_NS5tupleIffNS7_9null_typeES9_S9_S9_S9_S9_S9_S9_EENS0_10empty_typeEbEEZZNS1_14partition_implILS5_8ELb0ES3_jNS7_6detail15normal_iteratorINS7_10device_ptrISA_EEEEPSB_PKSB_NS0_5tupleIJSI_SB_EEENSM_IJSJ_SJ_EEENS0_18inequality_wrapperINS7_8equal_toISA_EEEEPmJSB_EEE10hipError_tPvRmT3_T4_T5_T6_T7_T9_mT8_P12ihipStream_tbDpT10_ENKUlT_T0_E_clISt17integral_constantIbLb0EES1D_EEDaS18_S19_EUlS18_E_NS1_11comp_targetILNS1_3genE10ELNS1_11target_archE1200ELNS1_3gpuE4ELNS1_3repE0EEENS1_30default_config_static_selectorELNS0_4arch9wavefront6targetE1EEEvT1_,@function
_ZN7rocprim17ROCPRIM_400000_NS6detail17trampoline_kernelINS0_14default_configENS1_25partition_config_selectorILNS1_17partition_subalgoE8EN6thrust23THRUST_200600_302600_NS5tupleIffNS7_9null_typeES9_S9_S9_S9_S9_S9_S9_EENS0_10empty_typeEbEEZZNS1_14partition_implILS5_8ELb0ES3_jNS7_6detail15normal_iteratorINS7_10device_ptrISA_EEEEPSB_PKSB_NS0_5tupleIJSI_SB_EEENSM_IJSJ_SJ_EEENS0_18inequality_wrapperINS7_8equal_toISA_EEEEPmJSB_EEE10hipError_tPvRmT3_T4_T5_T6_T7_T9_mT8_P12ihipStream_tbDpT10_ENKUlT_T0_E_clISt17integral_constantIbLb0EES1D_EEDaS18_S19_EUlS18_E_NS1_11comp_targetILNS1_3genE10ELNS1_11target_archE1200ELNS1_3gpuE4ELNS1_3repE0EEENS1_30default_config_static_selectorELNS0_4arch9wavefront6targetE1EEEvT1_: ; @_ZN7rocprim17ROCPRIM_400000_NS6detail17trampoline_kernelINS0_14default_configENS1_25partition_config_selectorILNS1_17partition_subalgoE8EN6thrust23THRUST_200600_302600_NS5tupleIffNS7_9null_typeES9_S9_S9_S9_S9_S9_S9_EENS0_10empty_typeEbEEZZNS1_14partition_implILS5_8ELb0ES3_jNS7_6detail15normal_iteratorINS7_10device_ptrISA_EEEEPSB_PKSB_NS0_5tupleIJSI_SB_EEENSM_IJSJ_SJ_EEENS0_18inequality_wrapperINS7_8equal_toISA_EEEEPmJSB_EEE10hipError_tPvRmT3_T4_T5_T6_T7_T9_mT8_P12ihipStream_tbDpT10_ENKUlT_T0_E_clISt17integral_constantIbLb0EES1D_EEDaS18_S19_EUlS18_E_NS1_11comp_targetILNS1_3genE10ELNS1_11target_archE1200ELNS1_3gpuE4ELNS1_3repE0EEENS1_30default_config_static_selectorELNS0_4arch9wavefront6targetE1EEEvT1_
; %bb.0:
	.section	.rodata,"a",@progbits
	.p2align	6, 0x0
	.amdhsa_kernel _ZN7rocprim17ROCPRIM_400000_NS6detail17trampoline_kernelINS0_14default_configENS1_25partition_config_selectorILNS1_17partition_subalgoE8EN6thrust23THRUST_200600_302600_NS5tupleIffNS7_9null_typeES9_S9_S9_S9_S9_S9_S9_EENS0_10empty_typeEbEEZZNS1_14partition_implILS5_8ELb0ES3_jNS7_6detail15normal_iteratorINS7_10device_ptrISA_EEEEPSB_PKSB_NS0_5tupleIJSI_SB_EEENSM_IJSJ_SJ_EEENS0_18inequality_wrapperINS7_8equal_toISA_EEEEPmJSB_EEE10hipError_tPvRmT3_T4_T5_T6_T7_T9_mT8_P12ihipStream_tbDpT10_ENKUlT_T0_E_clISt17integral_constantIbLb0EES1D_EEDaS18_S19_EUlS18_E_NS1_11comp_targetILNS1_3genE10ELNS1_11target_archE1200ELNS1_3gpuE4ELNS1_3repE0EEENS1_30default_config_static_selectorELNS0_4arch9wavefront6targetE1EEEvT1_
		.amdhsa_group_segment_fixed_size 0
		.amdhsa_private_segment_fixed_size 0
		.amdhsa_kernarg_size 112
		.amdhsa_user_sgpr_count 2
		.amdhsa_user_sgpr_dispatch_ptr 0
		.amdhsa_user_sgpr_queue_ptr 0
		.amdhsa_user_sgpr_kernarg_segment_ptr 1
		.amdhsa_user_sgpr_dispatch_id 0
		.amdhsa_user_sgpr_kernarg_preload_length 0
		.amdhsa_user_sgpr_kernarg_preload_offset 0
		.amdhsa_user_sgpr_private_segment_size 0
		.amdhsa_uses_dynamic_stack 0
		.amdhsa_enable_private_segment 0
		.amdhsa_system_sgpr_workgroup_id_x 1
		.amdhsa_system_sgpr_workgroup_id_y 0
		.amdhsa_system_sgpr_workgroup_id_z 0
		.amdhsa_system_sgpr_workgroup_info 0
		.amdhsa_system_vgpr_workitem_id 0
		.amdhsa_next_free_vgpr 1
		.amdhsa_next_free_sgpr 0
		.amdhsa_accum_offset 4
		.amdhsa_reserve_vcc 0
		.amdhsa_float_round_mode_32 0
		.amdhsa_float_round_mode_16_64 0
		.amdhsa_float_denorm_mode_32 3
		.amdhsa_float_denorm_mode_16_64 3
		.amdhsa_dx10_clamp 1
		.amdhsa_ieee_mode 1
		.amdhsa_fp16_overflow 0
		.amdhsa_tg_split 0
		.amdhsa_exception_fp_ieee_invalid_op 0
		.amdhsa_exception_fp_denorm_src 0
		.amdhsa_exception_fp_ieee_div_zero 0
		.amdhsa_exception_fp_ieee_overflow 0
		.amdhsa_exception_fp_ieee_underflow 0
		.amdhsa_exception_fp_ieee_inexact 0
		.amdhsa_exception_int_div_zero 0
	.end_amdhsa_kernel
	.section	.text._ZN7rocprim17ROCPRIM_400000_NS6detail17trampoline_kernelINS0_14default_configENS1_25partition_config_selectorILNS1_17partition_subalgoE8EN6thrust23THRUST_200600_302600_NS5tupleIffNS7_9null_typeES9_S9_S9_S9_S9_S9_S9_EENS0_10empty_typeEbEEZZNS1_14partition_implILS5_8ELb0ES3_jNS7_6detail15normal_iteratorINS7_10device_ptrISA_EEEEPSB_PKSB_NS0_5tupleIJSI_SB_EEENSM_IJSJ_SJ_EEENS0_18inequality_wrapperINS7_8equal_toISA_EEEEPmJSB_EEE10hipError_tPvRmT3_T4_T5_T6_T7_T9_mT8_P12ihipStream_tbDpT10_ENKUlT_T0_E_clISt17integral_constantIbLb0EES1D_EEDaS18_S19_EUlS18_E_NS1_11comp_targetILNS1_3genE10ELNS1_11target_archE1200ELNS1_3gpuE4ELNS1_3repE0EEENS1_30default_config_static_selectorELNS0_4arch9wavefront6targetE1EEEvT1_,"axG",@progbits,_ZN7rocprim17ROCPRIM_400000_NS6detail17trampoline_kernelINS0_14default_configENS1_25partition_config_selectorILNS1_17partition_subalgoE8EN6thrust23THRUST_200600_302600_NS5tupleIffNS7_9null_typeES9_S9_S9_S9_S9_S9_S9_EENS0_10empty_typeEbEEZZNS1_14partition_implILS5_8ELb0ES3_jNS7_6detail15normal_iteratorINS7_10device_ptrISA_EEEEPSB_PKSB_NS0_5tupleIJSI_SB_EEENSM_IJSJ_SJ_EEENS0_18inequality_wrapperINS7_8equal_toISA_EEEEPmJSB_EEE10hipError_tPvRmT3_T4_T5_T6_T7_T9_mT8_P12ihipStream_tbDpT10_ENKUlT_T0_E_clISt17integral_constantIbLb0EES1D_EEDaS18_S19_EUlS18_E_NS1_11comp_targetILNS1_3genE10ELNS1_11target_archE1200ELNS1_3gpuE4ELNS1_3repE0EEENS1_30default_config_static_selectorELNS0_4arch9wavefront6targetE1EEEvT1_,comdat
.Lfunc_end99:
	.size	_ZN7rocprim17ROCPRIM_400000_NS6detail17trampoline_kernelINS0_14default_configENS1_25partition_config_selectorILNS1_17partition_subalgoE8EN6thrust23THRUST_200600_302600_NS5tupleIffNS7_9null_typeES9_S9_S9_S9_S9_S9_S9_EENS0_10empty_typeEbEEZZNS1_14partition_implILS5_8ELb0ES3_jNS7_6detail15normal_iteratorINS7_10device_ptrISA_EEEEPSB_PKSB_NS0_5tupleIJSI_SB_EEENSM_IJSJ_SJ_EEENS0_18inequality_wrapperINS7_8equal_toISA_EEEEPmJSB_EEE10hipError_tPvRmT3_T4_T5_T6_T7_T9_mT8_P12ihipStream_tbDpT10_ENKUlT_T0_E_clISt17integral_constantIbLb0EES1D_EEDaS18_S19_EUlS18_E_NS1_11comp_targetILNS1_3genE10ELNS1_11target_archE1200ELNS1_3gpuE4ELNS1_3repE0EEENS1_30default_config_static_selectorELNS0_4arch9wavefront6targetE1EEEvT1_, .Lfunc_end99-_ZN7rocprim17ROCPRIM_400000_NS6detail17trampoline_kernelINS0_14default_configENS1_25partition_config_selectorILNS1_17partition_subalgoE8EN6thrust23THRUST_200600_302600_NS5tupleIffNS7_9null_typeES9_S9_S9_S9_S9_S9_S9_EENS0_10empty_typeEbEEZZNS1_14partition_implILS5_8ELb0ES3_jNS7_6detail15normal_iteratorINS7_10device_ptrISA_EEEEPSB_PKSB_NS0_5tupleIJSI_SB_EEENSM_IJSJ_SJ_EEENS0_18inequality_wrapperINS7_8equal_toISA_EEEEPmJSB_EEE10hipError_tPvRmT3_T4_T5_T6_T7_T9_mT8_P12ihipStream_tbDpT10_ENKUlT_T0_E_clISt17integral_constantIbLb0EES1D_EEDaS18_S19_EUlS18_E_NS1_11comp_targetILNS1_3genE10ELNS1_11target_archE1200ELNS1_3gpuE4ELNS1_3repE0EEENS1_30default_config_static_selectorELNS0_4arch9wavefront6targetE1EEEvT1_
                                        ; -- End function
	.section	.AMDGPU.csdata,"",@progbits
; Kernel info:
; codeLenInByte = 0
; NumSgprs: 6
; NumVgprs: 0
; NumAgprs: 0
; TotalNumVgprs: 0
; ScratchSize: 0
; MemoryBound: 0
; FloatMode: 240
; IeeeMode: 1
; LDSByteSize: 0 bytes/workgroup (compile time only)
; SGPRBlocks: 0
; VGPRBlocks: 0
; NumSGPRsForWavesPerEU: 6
; NumVGPRsForWavesPerEU: 1
; AccumOffset: 4
; Occupancy: 8
; WaveLimiterHint : 0
; COMPUTE_PGM_RSRC2:SCRATCH_EN: 0
; COMPUTE_PGM_RSRC2:USER_SGPR: 2
; COMPUTE_PGM_RSRC2:TRAP_HANDLER: 0
; COMPUTE_PGM_RSRC2:TGID_X_EN: 1
; COMPUTE_PGM_RSRC2:TGID_Y_EN: 0
; COMPUTE_PGM_RSRC2:TGID_Z_EN: 0
; COMPUTE_PGM_RSRC2:TIDIG_COMP_CNT: 0
; COMPUTE_PGM_RSRC3_GFX90A:ACCUM_OFFSET: 0
; COMPUTE_PGM_RSRC3_GFX90A:TG_SPLIT: 0
	.section	.text._ZN7rocprim17ROCPRIM_400000_NS6detail17trampoline_kernelINS0_14default_configENS1_25partition_config_selectorILNS1_17partition_subalgoE8EN6thrust23THRUST_200600_302600_NS5tupleIffNS7_9null_typeES9_S9_S9_S9_S9_S9_S9_EENS0_10empty_typeEbEEZZNS1_14partition_implILS5_8ELb0ES3_jNS7_6detail15normal_iteratorINS7_10device_ptrISA_EEEEPSB_PKSB_NS0_5tupleIJSI_SB_EEENSM_IJSJ_SJ_EEENS0_18inequality_wrapperINS7_8equal_toISA_EEEEPmJSB_EEE10hipError_tPvRmT3_T4_T5_T6_T7_T9_mT8_P12ihipStream_tbDpT10_ENKUlT_T0_E_clISt17integral_constantIbLb0EES1D_EEDaS18_S19_EUlS18_E_NS1_11comp_targetILNS1_3genE9ELNS1_11target_archE1100ELNS1_3gpuE3ELNS1_3repE0EEENS1_30default_config_static_selectorELNS0_4arch9wavefront6targetE1EEEvT1_,"axG",@progbits,_ZN7rocprim17ROCPRIM_400000_NS6detail17trampoline_kernelINS0_14default_configENS1_25partition_config_selectorILNS1_17partition_subalgoE8EN6thrust23THRUST_200600_302600_NS5tupleIffNS7_9null_typeES9_S9_S9_S9_S9_S9_S9_EENS0_10empty_typeEbEEZZNS1_14partition_implILS5_8ELb0ES3_jNS7_6detail15normal_iteratorINS7_10device_ptrISA_EEEEPSB_PKSB_NS0_5tupleIJSI_SB_EEENSM_IJSJ_SJ_EEENS0_18inequality_wrapperINS7_8equal_toISA_EEEEPmJSB_EEE10hipError_tPvRmT3_T4_T5_T6_T7_T9_mT8_P12ihipStream_tbDpT10_ENKUlT_T0_E_clISt17integral_constantIbLb0EES1D_EEDaS18_S19_EUlS18_E_NS1_11comp_targetILNS1_3genE9ELNS1_11target_archE1100ELNS1_3gpuE3ELNS1_3repE0EEENS1_30default_config_static_selectorELNS0_4arch9wavefront6targetE1EEEvT1_,comdat
	.protected	_ZN7rocprim17ROCPRIM_400000_NS6detail17trampoline_kernelINS0_14default_configENS1_25partition_config_selectorILNS1_17partition_subalgoE8EN6thrust23THRUST_200600_302600_NS5tupleIffNS7_9null_typeES9_S9_S9_S9_S9_S9_S9_EENS0_10empty_typeEbEEZZNS1_14partition_implILS5_8ELb0ES3_jNS7_6detail15normal_iteratorINS7_10device_ptrISA_EEEEPSB_PKSB_NS0_5tupleIJSI_SB_EEENSM_IJSJ_SJ_EEENS0_18inequality_wrapperINS7_8equal_toISA_EEEEPmJSB_EEE10hipError_tPvRmT3_T4_T5_T6_T7_T9_mT8_P12ihipStream_tbDpT10_ENKUlT_T0_E_clISt17integral_constantIbLb0EES1D_EEDaS18_S19_EUlS18_E_NS1_11comp_targetILNS1_3genE9ELNS1_11target_archE1100ELNS1_3gpuE3ELNS1_3repE0EEENS1_30default_config_static_selectorELNS0_4arch9wavefront6targetE1EEEvT1_ ; -- Begin function _ZN7rocprim17ROCPRIM_400000_NS6detail17trampoline_kernelINS0_14default_configENS1_25partition_config_selectorILNS1_17partition_subalgoE8EN6thrust23THRUST_200600_302600_NS5tupleIffNS7_9null_typeES9_S9_S9_S9_S9_S9_S9_EENS0_10empty_typeEbEEZZNS1_14partition_implILS5_8ELb0ES3_jNS7_6detail15normal_iteratorINS7_10device_ptrISA_EEEEPSB_PKSB_NS0_5tupleIJSI_SB_EEENSM_IJSJ_SJ_EEENS0_18inequality_wrapperINS7_8equal_toISA_EEEEPmJSB_EEE10hipError_tPvRmT3_T4_T5_T6_T7_T9_mT8_P12ihipStream_tbDpT10_ENKUlT_T0_E_clISt17integral_constantIbLb0EES1D_EEDaS18_S19_EUlS18_E_NS1_11comp_targetILNS1_3genE9ELNS1_11target_archE1100ELNS1_3gpuE3ELNS1_3repE0EEENS1_30default_config_static_selectorELNS0_4arch9wavefront6targetE1EEEvT1_
	.globl	_ZN7rocprim17ROCPRIM_400000_NS6detail17trampoline_kernelINS0_14default_configENS1_25partition_config_selectorILNS1_17partition_subalgoE8EN6thrust23THRUST_200600_302600_NS5tupleIffNS7_9null_typeES9_S9_S9_S9_S9_S9_S9_EENS0_10empty_typeEbEEZZNS1_14partition_implILS5_8ELb0ES3_jNS7_6detail15normal_iteratorINS7_10device_ptrISA_EEEEPSB_PKSB_NS0_5tupleIJSI_SB_EEENSM_IJSJ_SJ_EEENS0_18inequality_wrapperINS7_8equal_toISA_EEEEPmJSB_EEE10hipError_tPvRmT3_T4_T5_T6_T7_T9_mT8_P12ihipStream_tbDpT10_ENKUlT_T0_E_clISt17integral_constantIbLb0EES1D_EEDaS18_S19_EUlS18_E_NS1_11comp_targetILNS1_3genE9ELNS1_11target_archE1100ELNS1_3gpuE3ELNS1_3repE0EEENS1_30default_config_static_selectorELNS0_4arch9wavefront6targetE1EEEvT1_
	.p2align	8
	.type	_ZN7rocprim17ROCPRIM_400000_NS6detail17trampoline_kernelINS0_14default_configENS1_25partition_config_selectorILNS1_17partition_subalgoE8EN6thrust23THRUST_200600_302600_NS5tupleIffNS7_9null_typeES9_S9_S9_S9_S9_S9_S9_EENS0_10empty_typeEbEEZZNS1_14partition_implILS5_8ELb0ES3_jNS7_6detail15normal_iteratorINS7_10device_ptrISA_EEEEPSB_PKSB_NS0_5tupleIJSI_SB_EEENSM_IJSJ_SJ_EEENS0_18inequality_wrapperINS7_8equal_toISA_EEEEPmJSB_EEE10hipError_tPvRmT3_T4_T5_T6_T7_T9_mT8_P12ihipStream_tbDpT10_ENKUlT_T0_E_clISt17integral_constantIbLb0EES1D_EEDaS18_S19_EUlS18_E_NS1_11comp_targetILNS1_3genE9ELNS1_11target_archE1100ELNS1_3gpuE3ELNS1_3repE0EEENS1_30default_config_static_selectorELNS0_4arch9wavefront6targetE1EEEvT1_,@function
_ZN7rocprim17ROCPRIM_400000_NS6detail17trampoline_kernelINS0_14default_configENS1_25partition_config_selectorILNS1_17partition_subalgoE8EN6thrust23THRUST_200600_302600_NS5tupleIffNS7_9null_typeES9_S9_S9_S9_S9_S9_S9_EENS0_10empty_typeEbEEZZNS1_14partition_implILS5_8ELb0ES3_jNS7_6detail15normal_iteratorINS7_10device_ptrISA_EEEEPSB_PKSB_NS0_5tupleIJSI_SB_EEENSM_IJSJ_SJ_EEENS0_18inequality_wrapperINS7_8equal_toISA_EEEEPmJSB_EEE10hipError_tPvRmT3_T4_T5_T6_T7_T9_mT8_P12ihipStream_tbDpT10_ENKUlT_T0_E_clISt17integral_constantIbLb0EES1D_EEDaS18_S19_EUlS18_E_NS1_11comp_targetILNS1_3genE9ELNS1_11target_archE1100ELNS1_3gpuE3ELNS1_3repE0EEENS1_30default_config_static_selectorELNS0_4arch9wavefront6targetE1EEEvT1_: ; @_ZN7rocprim17ROCPRIM_400000_NS6detail17trampoline_kernelINS0_14default_configENS1_25partition_config_selectorILNS1_17partition_subalgoE8EN6thrust23THRUST_200600_302600_NS5tupleIffNS7_9null_typeES9_S9_S9_S9_S9_S9_S9_EENS0_10empty_typeEbEEZZNS1_14partition_implILS5_8ELb0ES3_jNS7_6detail15normal_iteratorINS7_10device_ptrISA_EEEEPSB_PKSB_NS0_5tupleIJSI_SB_EEENSM_IJSJ_SJ_EEENS0_18inequality_wrapperINS7_8equal_toISA_EEEEPmJSB_EEE10hipError_tPvRmT3_T4_T5_T6_T7_T9_mT8_P12ihipStream_tbDpT10_ENKUlT_T0_E_clISt17integral_constantIbLb0EES1D_EEDaS18_S19_EUlS18_E_NS1_11comp_targetILNS1_3genE9ELNS1_11target_archE1100ELNS1_3gpuE3ELNS1_3repE0EEENS1_30default_config_static_selectorELNS0_4arch9wavefront6targetE1EEEvT1_
; %bb.0:
	.section	.rodata,"a",@progbits
	.p2align	6, 0x0
	.amdhsa_kernel _ZN7rocprim17ROCPRIM_400000_NS6detail17trampoline_kernelINS0_14default_configENS1_25partition_config_selectorILNS1_17partition_subalgoE8EN6thrust23THRUST_200600_302600_NS5tupleIffNS7_9null_typeES9_S9_S9_S9_S9_S9_S9_EENS0_10empty_typeEbEEZZNS1_14partition_implILS5_8ELb0ES3_jNS7_6detail15normal_iteratorINS7_10device_ptrISA_EEEEPSB_PKSB_NS0_5tupleIJSI_SB_EEENSM_IJSJ_SJ_EEENS0_18inequality_wrapperINS7_8equal_toISA_EEEEPmJSB_EEE10hipError_tPvRmT3_T4_T5_T6_T7_T9_mT8_P12ihipStream_tbDpT10_ENKUlT_T0_E_clISt17integral_constantIbLb0EES1D_EEDaS18_S19_EUlS18_E_NS1_11comp_targetILNS1_3genE9ELNS1_11target_archE1100ELNS1_3gpuE3ELNS1_3repE0EEENS1_30default_config_static_selectorELNS0_4arch9wavefront6targetE1EEEvT1_
		.amdhsa_group_segment_fixed_size 0
		.amdhsa_private_segment_fixed_size 0
		.amdhsa_kernarg_size 112
		.amdhsa_user_sgpr_count 2
		.amdhsa_user_sgpr_dispatch_ptr 0
		.amdhsa_user_sgpr_queue_ptr 0
		.amdhsa_user_sgpr_kernarg_segment_ptr 1
		.amdhsa_user_sgpr_dispatch_id 0
		.amdhsa_user_sgpr_kernarg_preload_length 0
		.amdhsa_user_sgpr_kernarg_preload_offset 0
		.amdhsa_user_sgpr_private_segment_size 0
		.amdhsa_uses_dynamic_stack 0
		.amdhsa_enable_private_segment 0
		.amdhsa_system_sgpr_workgroup_id_x 1
		.amdhsa_system_sgpr_workgroup_id_y 0
		.amdhsa_system_sgpr_workgroup_id_z 0
		.amdhsa_system_sgpr_workgroup_info 0
		.amdhsa_system_vgpr_workitem_id 0
		.amdhsa_next_free_vgpr 1
		.amdhsa_next_free_sgpr 0
		.amdhsa_accum_offset 4
		.amdhsa_reserve_vcc 0
		.amdhsa_float_round_mode_32 0
		.amdhsa_float_round_mode_16_64 0
		.amdhsa_float_denorm_mode_32 3
		.amdhsa_float_denorm_mode_16_64 3
		.amdhsa_dx10_clamp 1
		.amdhsa_ieee_mode 1
		.amdhsa_fp16_overflow 0
		.amdhsa_tg_split 0
		.amdhsa_exception_fp_ieee_invalid_op 0
		.amdhsa_exception_fp_denorm_src 0
		.amdhsa_exception_fp_ieee_div_zero 0
		.amdhsa_exception_fp_ieee_overflow 0
		.amdhsa_exception_fp_ieee_underflow 0
		.amdhsa_exception_fp_ieee_inexact 0
		.amdhsa_exception_int_div_zero 0
	.end_amdhsa_kernel
	.section	.text._ZN7rocprim17ROCPRIM_400000_NS6detail17trampoline_kernelINS0_14default_configENS1_25partition_config_selectorILNS1_17partition_subalgoE8EN6thrust23THRUST_200600_302600_NS5tupleIffNS7_9null_typeES9_S9_S9_S9_S9_S9_S9_EENS0_10empty_typeEbEEZZNS1_14partition_implILS5_8ELb0ES3_jNS7_6detail15normal_iteratorINS7_10device_ptrISA_EEEEPSB_PKSB_NS0_5tupleIJSI_SB_EEENSM_IJSJ_SJ_EEENS0_18inequality_wrapperINS7_8equal_toISA_EEEEPmJSB_EEE10hipError_tPvRmT3_T4_T5_T6_T7_T9_mT8_P12ihipStream_tbDpT10_ENKUlT_T0_E_clISt17integral_constantIbLb0EES1D_EEDaS18_S19_EUlS18_E_NS1_11comp_targetILNS1_3genE9ELNS1_11target_archE1100ELNS1_3gpuE3ELNS1_3repE0EEENS1_30default_config_static_selectorELNS0_4arch9wavefront6targetE1EEEvT1_,"axG",@progbits,_ZN7rocprim17ROCPRIM_400000_NS6detail17trampoline_kernelINS0_14default_configENS1_25partition_config_selectorILNS1_17partition_subalgoE8EN6thrust23THRUST_200600_302600_NS5tupleIffNS7_9null_typeES9_S9_S9_S9_S9_S9_S9_EENS0_10empty_typeEbEEZZNS1_14partition_implILS5_8ELb0ES3_jNS7_6detail15normal_iteratorINS7_10device_ptrISA_EEEEPSB_PKSB_NS0_5tupleIJSI_SB_EEENSM_IJSJ_SJ_EEENS0_18inequality_wrapperINS7_8equal_toISA_EEEEPmJSB_EEE10hipError_tPvRmT3_T4_T5_T6_T7_T9_mT8_P12ihipStream_tbDpT10_ENKUlT_T0_E_clISt17integral_constantIbLb0EES1D_EEDaS18_S19_EUlS18_E_NS1_11comp_targetILNS1_3genE9ELNS1_11target_archE1100ELNS1_3gpuE3ELNS1_3repE0EEENS1_30default_config_static_selectorELNS0_4arch9wavefront6targetE1EEEvT1_,comdat
.Lfunc_end100:
	.size	_ZN7rocprim17ROCPRIM_400000_NS6detail17trampoline_kernelINS0_14default_configENS1_25partition_config_selectorILNS1_17partition_subalgoE8EN6thrust23THRUST_200600_302600_NS5tupleIffNS7_9null_typeES9_S9_S9_S9_S9_S9_S9_EENS0_10empty_typeEbEEZZNS1_14partition_implILS5_8ELb0ES3_jNS7_6detail15normal_iteratorINS7_10device_ptrISA_EEEEPSB_PKSB_NS0_5tupleIJSI_SB_EEENSM_IJSJ_SJ_EEENS0_18inequality_wrapperINS7_8equal_toISA_EEEEPmJSB_EEE10hipError_tPvRmT3_T4_T5_T6_T7_T9_mT8_P12ihipStream_tbDpT10_ENKUlT_T0_E_clISt17integral_constantIbLb0EES1D_EEDaS18_S19_EUlS18_E_NS1_11comp_targetILNS1_3genE9ELNS1_11target_archE1100ELNS1_3gpuE3ELNS1_3repE0EEENS1_30default_config_static_selectorELNS0_4arch9wavefront6targetE1EEEvT1_, .Lfunc_end100-_ZN7rocprim17ROCPRIM_400000_NS6detail17trampoline_kernelINS0_14default_configENS1_25partition_config_selectorILNS1_17partition_subalgoE8EN6thrust23THRUST_200600_302600_NS5tupleIffNS7_9null_typeES9_S9_S9_S9_S9_S9_S9_EENS0_10empty_typeEbEEZZNS1_14partition_implILS5_8ELb0ES3_jNS7_6detail15normal_iteratorINS7_10device_ptrISA_EEEEPSB_PKSB_NS0_5tupleIJSI_SB_EEENSM_IJSJ_SJ_EEENS0_18inequality_wrapperINS7_8equal_toISA_EEEEPmJSB_EEE10hipError_tPvRmT3_T4_T5_T6_T7_T9_mT8_P12ihipStream_tbDpT10_ENKUlT_T0_E_clISt17integral_constantIbLb0EES1D_EEDaS18_S19_EUlS18_E_NS1_11comp_targetILNS1_3genE9ELNS1_11target_archE1100ELNS1_3gpuE3ELNS1_3repE0EEENS1_30default_config_static_selectorELNS0_4arch9wavefront6targetE1EEEvT1_
                                        ; -- End function
	.section	.AMDGPU.csdata,"",@progbits
; Kernel info:
; codeLenInByte = 0
; NumSgprs: 6
; NumVgprs: 0
; NumAgprs: 0
; TotalNumVgprs: 0
; ScratchSize: 0
; MemoryBound: 0
; FloatMode: 240
; IeeeMode: 1
; LDSByteSize: 0 bytes/workgroup (compile time only)
; SGPRBlocks: 0
; VGPRBlocks: 0
; NumSGPRsForWavesPerEU: 6
; NumVGPRsForWavesPerEU: 1
; AccumOffset: 4
; Occupancy: 8
; WaveLimiterHint : 0
; COMPUTE_PGM_RSRC2:SCRATCH_EN: 0
; COMPUTE_PGM_RSRC2:USER_SGPR: 2
; COMPUTE_PGM_RSRC2:TRAP_HANDLER: 0
; COMPUTE_PGM_RSRC2:TGID_X_EN: 1
; COMPUTE_PGM_RSRC2:TGID_Y_EN: 0
; COMPUTE_PGM_RSRC2:TGID_Z_EN: 0
; COMPUTE_PGM_RSRC2:TIDIG_COMP_CNT: 0
; COMPUTE_PGM_RSRC3_GFX90A:ACCUM_OFFSET: 0
; COMPUTE_PGM_RSRC3_GFX90A:TG_SPLIT: 0
	.section	.text._ZN7rocprim17ROCPRIM_400000_NS6detail17trampoline_kernelINS0_14default_configENS1_25partition_config_selectorILNS1_17partition_subalgoE8EN6thrust23THRUST_200600_302600_NS5tupleIffNS7_9null_typeES9_S9_S9_S9_S9_S9_S9_EENS0_10empty_typeEbEEZZNS1_14partition_implILS5_8ELb0ES3_jNS7_6detail15normal_iteratorINS7_10device_ptrISA_EEEEPSB_PKSB_NS0_5tupleIJSI_SB_EEENSM_IJSJ_SJ_EEENS0_18inequality_wrapperINS7_8equal_toISA_EEEEPmJSB_EEE10hipError_tPvRmT3_T4_T5_T6_T7_T9_mT8_P12ihipStream_tbDpT10_ENKUlT_T0_E_clISt17integral_constantIbLb0EES1D_EEDaS18_S19_EUlS18_E_NS1_11comp_targetILNS1_3genE8ELNS1_11target_archE1030ELNS1_3gpuE2ELNS1_3repE0EEENS1_30default_config_static_selectorELNS0_4arch9wavefront6targetE1EEEvT1_,"axG",@progbits,_ZN7rocprim17ROCPRIM_400000_NS6detail17trampoline_kernelINS0_14default_configENS1_25partition_config_selectorILNS1_17partition_subalgoE8EN6thrust23THRUST_200600_302600_NS5tupleIffNS7_9null_typeES9_S9_S9_S9_S9_S9_S9_EENS0_10empty_typeEbEEZZNS1_14partition_implILS5_8ELb0ES3_jNS7_6detail15normal_iteratorINS7_10device_ptrISA_EEEEPSB_PKSB_NS0_5tupleIJSI_SB_EEENSM_IJSJ_SJ_EEENS0_18inequality_wrapperINS7_8equal_toISA_EEEEPmJSB_EEE10hipError_tPvRmT3_T4_T5_T6_T7_T9_mT8_P12ihipStream_tbDpT10_ENKUlT_T0_E_clISt17integral_constantIbLb0EES1D_EEDaS18_S19_EUlS18_E_NS1_11comp_targetILNS1_3genE8ELNS1_11target_archE1030ELNS1_3gpuE2ELNS1_3repE0EEENS1_30default_config_static_selectorELNS0_4arch9wavefront6targetE1EEEvT1_,comdat
	.protected	_ZN7rocprim17ROCPRIM_400000_NS6detail17trampoline_kernelINS0_14default_configENS1_25partition_config_selectorILNS1_17partition_subalgoE8EN6thrust23THRUST_200600_302600_NS5tupleIffNS7_9null_typeES9_S9_S9_S9_S9_S9_S9_EENS0_10empty_typeEbEEZZNS1_14partition_implILS5_8ELb0ES3_jNS7_6detail15normal_iteratorINS7_10device_ptrISA_EEEEPSB_PKSB_NS0_5tupleIJSI_SB_EEENSM_IJSJ_SJ_EEENS0_18inequality_wrapperINS7_8equal_toISA_EEEEPmJSB_EEE10hipError_tPvRmT3_T4_T5_T6_T7_T9_mT8_P12ihipStream_tbDpT10_ENKUlT_T0_E_clISt17integral_constantIbLb0EES1D_EEDaS18_S19_EUlS18_E_NS1_11comp_targetILNS1_3genE8ELNS1_11target_archE1030ELNS1_3gpuE2ELNS1_3repE0EEENS1_30default_config_static_selectorELNS0_4arch9wavefront6targetE1EEEvT1_ ; -- Begin function _ZN7rocprim17ROCPRIM_400000_NS6detail17trampoline_kernelINS0_14default_configENS1_25partition_config_selectorILNS1_17partition_subalgoE8EN6thrust23THRUST_200600_302600_NS5tupleIffNS7_9null_typeES9_S9_S9_S9_S9_S9_S9_EENS0_10empty_typeEbEEZZNS1_14partition_implILS5_8ELb0ES3_jNS7_6detail15normal_iteratorINS7_10device_ptrISA_EEEEPSB_PKSB_NS0_5tupleIJSI_SB_EEENSM_IJSJ_SJ_EEENS0_18inequality_wrapperINS7_8equal_toISA_EEEEPmJSB_EEE10hipError_tPvRmT3_T4_T5_T6_T7_T9_mT8_P12ihipStream_tbDpT10_ENKUlT_T0_E_clISt17integral_constantIbLb0EES1D_EEDaS18_S19_EUlS18_E_NS1_11comp_targetILNS1_3genE8ELNS1_11target_archE1030ELNS1_3gpuE2ELNS1_3repE0EEENS1_30default_config_static_selectorELNS0_4arch9wavefront6targetE1EEEvT1_
	.globl	_ZN7rocprim17ROCPRIM_400000_NS6detail17trampoline_kernelINS0_14default_configENS1_25partition_config_selectorILNS1_17partition_subalgoE8EN6thrust23THRUST_200600_302600_NS5tupleIffNS7_9null_typeES9_S9_S9_S9_S9_S9_S9_EENS0_10empty_typeEbEEZZNS1_14partition_implILS5_8ELb0ES3_jNS7_6detail15normal_iteratorINS7_10device_ptrISA_EEEEPSB_PKSB_NS0_5tupleIJSI_SB_EEENSM_IJSJ_SJ_EEENS0_18inequality_wrapperINS7_8equal_toISA_EEEEPmJSB_EEE10hipError_tPvRmT3_T4_T5_T6_T7_T9_mT8_P12ihipStream_tbDpT10_ENKUlT_T0_E_clISt17integral_constantIbLb0EES1D_EEDaS18_S19_EUlS18_E_NS1_11comp_targetILNS1_3genE8ELNS1_11target_archE1030ELNS1_3gpuE2ELNS1_3repE0EEENS1_30default_config_static_selectorELNS0_4arch9wavefront6targetE1EEEvT1_
	.p2align	8
	.type	_ZN7rocprim17ROCPRIM_400000_NS6detail17trampoline_kernelINS0_14default_configENS1_25partition_config_selectorILNS1_17partition_subalgoE8EN6thrust23THRUST_200600_302600_NS5tupleIffNS7_9null_typeES9_S9_S9_S9_S9_S9_S9_EENS0_10empty_typeEbEEZZNS1_14partition_implILS5_8ELb0ES3_jNS7_6detail15normal_iteratorINS7_10device_ptrISA_EEEEPSB_PKSB_NS0_5tupleIJSI_SB_EEENSM_IJSJ_SJ_EEENS0_18inequality_wrapperINS7_8equal_toISA_EEEEPmJSB_EEE10hipError_tPvRmT3_T4_T5_T6_T7_T9_mT8_P12ihipStream_tbDpT10_ENKUlT_T0_E_clISt17integral_constantIbLb0EES1D_EEDaS18_S19_EUlS18_E_NS1_11comp_targetILNS1_3genE8ELNS1_11target_archE1030ELNS1_3gpuE2ELNS1_3repE0EEENS1_30default_config_static_selectorELNS0_4arch9wavefront6targetE1EEEvT1_,@function
_ZN7rocprim17ROCPRIM_400000_NS6detail17trampoline_kernelINS0_14default_configENS1_25partition_config_selectorILNS1_17partition_subalgoE8EN6thrust23THRUST_200600_302600_NS5tupleIffNS7_9null_typeES9_S9_S9_S9_S9_S9_S9_EENS0_10empty_typeEbEEZZNS1_14partition_implILS5_8ELb0ES3_jNS7_6detail15normal_iteratorINS7_10device_ptrISA_EEEEPSB_PKSB_NS0_5tupleIJSI_SB_EEENSM_IJSJ_SJ_EEENS0_18inequality_wrapperINS7_8equal_toISA_EEEEPmJSB_EEE10hipError_tPvRmT3_T4_T5_T6_T7_T9_mT8_P12ihipStream_tbDpT10_ENKUlT_T0_E_clISt17integral_constantIbLb0EES1D_EEDaS18_S19_EUlS18_E_NS1_11comp_targetILNS1_3genE8ELNS1_11target_archE1030ELNS1_3gpuE2ELNS1_3repE0EEENS1_30default_config_static_selectorELNS0_4arch9wavefront6targetE1EEEvT1_: ; @_ZN7rocprim17ROCPRIM_400000_NS6detail17trampoline_kernelINS0_14default_configENS1_25partition_config_selectorILNS1_17partition_subalgoE8EN6thrust23THRUST_200600_302600_NS5tupleIffNS7_9null_typeES9_S9_S9_S9_S9_S9_S9_EENS0_10empty_typeEbEEZZNS1_14partition_implILS5_8ELb0ES3_jNS7_6detail15normal_iteratorINS7_10device_ptrISA_EEEEPSB_PKSB_NS0_5tupleIJSI_SB_EEENSM_IJSJ_SJ_EEENS0_18inequality_wrapperINS7_8equal_toISA_EEEEPmJSB_EEE10hipError_tPvRmT3_T4_T5_T6_T7_T9_mT8_P12ihipStream_tbDpT10_ENKUlT_T0_E_clISt17integral_constantIbLb0EES1D_EEDaS18_S19_EUlS18_E_NS1_11comp_targetILNS1_3genE8ELNS1_11target_archE1030ELNS1_3gpuE2ELNS1_3repE0EEENS1_30default_config_static_selectorELNS0_4arch9wavefront6targetE1EEEvT1_
; %bb.0:
	.section	.rodata,"a",@progbits
	.p2align	6, 0x0
	.amdhsa_kernel _ZN7rocprim17ROCPRIM_400000_NS6detail17trampoline_kernelINS0_14default_configENS1_25partition_config_selectorILNS1_17partition_subalgoE8EN6thrust23THRUST_200600_302600_NS5tupleIffNS7_9null_typeES9_S9_S9_S9_S9_S9_S9_EENS0_10empty_typeEbEEZZNS1_14partition_implILS5_8ELb0ES3_jNS7_6detail15normal_iteratorINS7_10device_ptrISA_EEEEPSB_PKSB_NS0_5tupleIJSI_SB_EEENSM_IJSJ_SJ_EEENS0_18inequality_wrapperINS7_8equal_toISA_EEEEPmJSB_EEE10hipError_tPvRmT3_T4_T5_T6_T7_T9_mT8_P12ihipStream_tbDpT10_ENKUlT_T0_E_clISt17integral_constantIbLb0EES1D_EEDaS18_S19_EUlS18_E_NS1_11comp_targetILNS1_3genE8ELNS1_11target_archE1030ELNS1_3gpuE2ELNS1_3repE0EEENS1_30default_config_static_selectorELNS0_4arch9wavefront6targetE1EEEvT1_
		.amdhsa_group_segment_fixed_size 0
		.amdhsa_private_segment_fixed_size 0
		.amdhsa_kernarg_size 112
		.amdhsa_user_sgpr_count 2
		.amdhsa_user_sgpr_dispatch_ptr 0
		.amdhsa_user_sgpr_queue_ptr 0
		.amdhsa_user_sgpr_kernarg_segment_ptr 1
		.amdhsa_user_sgpr_dispatch_id 0
		.amdhsa_user_sgpr_kernarg_preload_length 0
		.amdhsa_user_sgpr_kernarg_preload_offset 0
		.amdhsa_user_sgpr_private_segment_size 0
		.amdhsa_uses_dynamic_stack 0
		.amdhsa_enable_private_segment 0
		.amdhsa_system_sgpr_workgroup_id_x 1
		.amdhsa_system_sgpr_workgroup_id_y 0
		.amdhsa_system_sgpr_workgroup_id_z 0
		.amdhsa_system_sgpr_workgroup_info 0
		.amdhsa_system_vgpr_workitem_id 0
		.amdhsa_next_free_vgpr 1
		.amdhsa_next_free_sgpr 0
		.amdhsa_accum_offset 4
		.amdhsa_reserve_vcc 0
		.amdhsa_float_round_mode_32 0
		.amdhsa_float_round_mode_16_64 0
		.amdhsa_float_denorm_mode_32 3
		.amdhsa_float_denorm_mode_16_64 3
		.amdhsa_dx10_clamp 1
		.amdhsa_ieee_mode 1
		.amdhsa_fp16_overflow 0
		.amdhsa_tg_split 0
		.amdhsa_exception_fp_ieee_invalid_op 0
		.amdhsa_exception_fp_denorm_src 0
		.amdhsa_exception_fp_ieee_div_zero 0
		.amdhsa_exception_fp_ieee_overflow 0
		.amdhsa_exception_fp_ieee_underflow 0
		.amdhsa_exception_fp_ieee_inexact 0
		.amdhsa_exception_int_div_zero 0
	.end_amdhsa_kernel
	.section	.text._ZN7rocprim17ROCPRIM_400000_NS6detail17trampoline_kernelINS0_14default_configENS1_25partition_config_selectorILNS1_17partition_subalgoE8EN6thrust23THRUST_200600_302600_NS5tupleIffNS7_9null_typeES9_S9_S9_S9_S9_S9_S9_EENS0_10empty_typeEbEEZZNS1_14partition_implILS5_8ELb0ES3_jNS7_6detail15normal_iteratorINS7_10device_ptrISA_EEEEPSB_PKSB_NS0_5tupleIJSI_SB_EEENSM_IJSJ_SJ_EEENS0_18inequality_wrapperINS7_8equal_toISA_EEEEPmJSB_EEE10hipError_tPvRmT3_T4_T5_T6_T7_T9_mT8_P12ihipStream_tbDpT10_ENKUlT_T0_E_clISt17integral_constantIbLb0EES1D_EEDaS18_S19_EUlS18_E_NS1_11comp_targetILNS1_3genE8ELNS1_11target_archE1030ELNS1_3gpuE2ELNS1_3repE0EEENS1_30default_config_static_selectorELNS0_4arch9wavefront6targetE1EEEvT1_,"axG",@progbits,_ZN7rocprim17ROCPRIM_400000_NS6detail17trampoline_kernelINS0_14default_configENS1_25partition_config_selectorILNS1_17partition_subalgoE8EN6thrust23THRUST_200600_302600_NS5tupleIffNS7_9null_typeES9_S9_S9_S9_S9_S9_S9_EENS0_10empty_typeEbEEZZNS1_14partition_implILS5_8ELb0ES3_jNS7_6detail15normal_iteratorINS7_10device_ptrISA_EEEEPSB_PKSB_NS0_5tupleIJSI_SB_EEENSM_IJSJ_SJ_EEENS0_18inequality_wrapperINS7_8equal_toISA_EEEEPmJSB_EEE10hipError_tPvRmT3_T4_T5_T6_T7_T9_mT8_P12ihipStream_tbDpT10_ENKUlT_T0_E_clISt17integral_constantIbLb0EES1D_EEDaS18_S19_EUlS18_E_NS1_11comp_targetILNS1_3genE8ELNS1_11target_archE1030ELNS1_3gpuE2ELNS1_3repE0EEENS1_30default_config_static_selectorELNS0_4arch9wavefront6targetE1EEEvT1_,comdat
.Lfunc_end101:
	.size	_ZN7rocprim17ROCPRIM_400000_NS6detail17trampoline_kernelINS0_14default_configENS1_25partition_config_selectorILNS1_17partition_subalgoE8EN6thrust23THRUST_200600_302600_NS5tupleIffNS7_9null_typeES9_S9_S9_S9_S9_S9_S9_EENS0_10empty_typeEbEEZZNS1_14partition_implILS5_8ELb0ES3_jNS7_6detail15normal_iteratorINS7_10device_ptrISA_EEEEPSB_PKSB_NS0_5tupleIJSI_SB_EEENSM_IJSJ_SJ_EEENS0_18inequality_wrapperINS7_8equal_toISA_EEEEPmJSB_EEE10hipError_tPvRmT3_T4_T5_T6_T7_T9_mT8_P12ihipStream_tbDpT10_ENKUlT_T0_E_clISt17integral_constantIbLb0EES1D_EEDaS18_S19_EUlS18_E_NS1_11comp_targetILNS1_3genE8ELNS1_11target_archE1030ELNS1_3gpuE2ELNS1_3repE0EEENS1_30default_config_static_selectorELNS0_4arch9wavefront6targetE1EEEvT1_, .Lfunc_end101-_ZN7rocprim17ROCPRIM_400000_NS6detail17trampoline_kernelINS0_14default_configENS1_25partition_config_selectorILNS1_17partition_subalgoE8EN6thrust23THRUST_200600_302600_NS5tupleIffNS7_9null_typeES9_S9_S9_S9_S9_S9_S9_EENS0_10empty_typeEbEEZZNS1_14partition_implILS5_8ELb0ES3_jNS7_6detail15normal_iteratorINS7_10device_ptrISA_EEEEPSB_PKSB_NS0_5tupleIJSI_SB_EEENSM_IJSJ_SJ_EEENS0_18inequality_wrapperINS7_8equal_toISA_EEEEPmJSB_EEE10hipError_tPvRmT3_T4_T5_T6_T7_T9_mT8_P12ihipStream_tbDpT10_ENKUlT_T0_E_clISt17integral_constantIbLb0EES1D_EEDaS18_S19_EUlS18_E_NS1_11comp_targetILNS1_3genE8ELNS1_11target_archE1030ELNS1_3gpuE2ELNS1_3repE0EEENS1_30default_config_static_selectorELNS0_4arch9wavefront6targetE1EEEvT1_
                                        ; -- End function
	.section	.AMDGPU.csdata,"",@progbits
; Kernel info:
; codeLenInByte = 0
; NumSgprs: 6
; NumVgprs: 0
; NumAgprs: 0
; TotalNumVgprs: 0
; ScratchSize: 0
; MemoryBound: 0
; FloatMode: 240
; IeeeMode: 1
; LDSByteSize: 0 bytes/workgroup (compile time only)
; SGPRBlocks: 0
; VGPRBlocks: 0
; NumSGPRsForWavesPerEU: 6
; NumVGPRsForWavesPerEU: 1
; AccumOffset: 4
; Occupancy: 8
; WaveLimiterHint : 0
; COMPUTE_PGM_RSRC2:SCRATCH_EN: 0
; COMPUTE_PGM_RSRC2:USER_SGPR: 2
; COMPUTE_PGM_RSRC2:TRAP_HANDLER: 0
; COMPUTE_PGM_RSRC2:TGID_X_EN: 1
; COMPUTE_PGM_RSRC2:TGID_Y_EN: 0
; COMPUTE_PGM_RSRC2:TGID_Z_EN: 0
; COMPUTE_PGM_RSRC2:TIDIG_COMP_CNT: 0
; COMPUTE_PGM_RSRC3_GFX90A:ACCUM_OFFSET: 0
; COMPUTE_PGM_RSRC3_GFX90A:TG_SPLIT: 0
	.section	.text._ZN7rocprim17ROCPRIM_400000_NS6detail17trampoline_kernelINS0_14default_configENS1_25transform_config_selectorImLb1EEEZNS1_14transform_implILb1ES3_S5_PmS7_NS0_8identityIvEEEE10hipError_tT2_T3_mT4_P12ihipStream_tbEUlT_E_NS1_11comp_targetILNS1_3genE0ELNS1_11target_archE4294967295ELNS1_3gpuE0ELNS1_3repE0EEENS1_30default_config_static_selectorELNS0_4arch9wavefront6targetE1EEEvT1_,"axG",@progbits,_ZN7rocprim17ROCPRIM_400000_NS6detail17trampoline_kernelINS0_14default_configENS1_25transform_config_selectorImLb1EEEZNS1_14transform_implILb1ES3_S5_PmS7_NS0_8identityIvEEEE10hipError_tT2_T3_mT4_P12ihipStream_tbEUlT_E_NS1_11comp_targetILNS1_3genE0ELNS1_11target_archE4294967295ELNS1_3gpuE0ELNS1_3repE0EEENS1_30default_config_static_selectorELNS0_4arch9wavefront6targetE1EEEvT1_,comdat
	.protected	_ZN7rocprim17ROCPRIM_400000_NS6detail17trampoline_kernelINS0_14default_configENS1_25transform_config_selectorImLb1EEEZNS1_14transform_implILb1ES3_S5_PmS7_NS0_8identityIvEEEE10hipError_tT2_T3_mT4_P12ihipStream_tbEUlT_E_NS1_11comp_targetILNS1_3genE0ELNS1_11target_archE4294967295ELNS1_3gpuE0ELNS1_3repE0EEENS1_30default_config_static_selectorELNS0_4arch9wavefront6targetE1EEEvT1_ ; -- Begin function _ZN7rocprim17ROCPRIM_400000_NS6detail17trampoline_kernelINS0_14default_configENS1_25transform_config_selectorImLb1EEEZNS1_14transform_implILb1ES3_S5_PmS7_NS0_8identityIvEEEE10hipError_tT2_T3_mT4_P12ihipStream_tbEUlT_E_NS1_11comp_targetILNS1_3genE0ELNS1_11target_archE4294967295ELNS1_3gpuE0ELNS1_3repE0EEENS1_30default_config_static_selectorELNS0_4arch9wavefront6targetE1EEEvT1_
	.globl	_ZN7rocprim17ROCPRIM_400000_NS6detail17trampoline_kernelINS0_14default_configENS1_25transform_config_selectorImLb1EEEZNS1_14transform_implILb1ES3_S5_PmS7_NS0_8identityIvEEEE10hipError_tT2_T3_mT4_P12ihipStream_tbEUlT_E_NS1_11comp_targetILNS1_3genE0ELNS1_11target_archE4294967295ELNS1_3gpuE0ELNS1_3repE0EEENS1_30default_config_static_selectorELNS0_4arch9wavefront6targetE1EEEvT1_
	.p2align	8
	.type	_ZN7rocprim17ROCPRIM_400000_NS6detail17trampoline_kernelINS0_14default_configENS1_25transform_config_selectorImLb1EEEZNS1_14transform_implILb1ES3_S5_PmS7_NS0_8identityIvEEEE10hipError_tT2_T3_mT4_P12ihipStream_tbEUlT_E_NS1_11comp_targetILNS1_3genE0ELNS1_11target_archE4294967295ELNS1_3gpuE0ELNS1_3repE0EEENS1_30default_config_static_selectorELNS0_4arch9wavefront6targetE1EEEvT1_,@function
_ZN7rocprim17ROCPRIM_400000_NS6detail17trampoline_kernelINS0_14default_configENS1_25transform_config_selectorImLb1EEEZNS1_14transform_implILb1ES3_S5_PmS7_NS0_8identityIvEEEE10hipError_tT2_T3_mT4_P12ihipStream_tbEUlT_E_NS1_11comp_targetILNS1_3genE0ELNS1_11target_archE4294967295ELNS1_3gpuE0ELNS1_3repE0EEENS1_30default_config_static_selectorELNS0_4arch9wavefront6targetE1EEEvT1_: ; @_ZN7rocprim17ROCPRIM_400000_NS6detail17trampoline_kernelINS0_14default_configENS1_25transform_config_selectorImLb1EEEZNS1_14transform_implILb1ES3_S5_PmS7_NS0_8identityIvEEEE10hipError_tT2_T3_mT4_P12ihipStream_tbEUlT_E_NS1_11comp_targetILNS1_3genE0ELNS1_11target_archE4294967295ELNS1_3gpuE0ELNS1_3repE0EEENS1_30default_config_static_selectorELNS0_4arch9wavefront6targetE1EEEvT1_
; %bb.0:
	.section	.rodata,"a",@progbits
	.p2align	6, 0x0
	.amdhsa_kernel _ZN7rocprim17ROCPRIM_400000_NS6detail17trampoline_kernelINS0_14default_configENS1_25transform_config_selectorImLb1EEEZNS1_14transform_implILb1ES3_S5_PmS7_NS0_8identityIvEEEE10hipError_tT2_T3_mT4_P12ihipStream_tbEUlT_E_NS1_11comp_targetILNS1_3genE0ELNS1_11target_archE4294967295ELNS1_3gpuE0ELNS1_3repE0EEENS1_30default_config_static_selectorELNS0_4arch9wavefront6targetE1EEEvT1_
		.amdhsa_group_segment_fixed_size 0
		.amdhsa_private_segment_fixed_size 0
		.amdhsa_kernarg_size 40
		.amdhsa_user_sgpr_count 2
		.amdhsa_user_sgpr_dispatch_ptr 0
		.amdhsa_user_sgpr_queue_ptr 0
		.amdhsa_user_sgpr_kernarg_segment_ptr 1
		.amdhsa_user_sgpr_dispatch_id 0
		.amdhsa_user_sgpr_kernarg_preload_length 0
		.amdhsa_user_sgpr_kernarg_preload_offset 0
		.amdhsa_user_sgpr_private_segment_size 0
		.amdhsa_uses_dynamic_stack 0
		.amdhsa_enable_private_segment 0
		.amdhsa_system_sgpr_workgroup_id_x 1
		.amdhsa_system_sgpr_workgroup_id_y 0
		.amdhsa_system_sgpr_workgroup_id_z 0
		.amdhsa_system_sgpr_workgroup_info 0
		.amdhsa_system_vgpr_workitem_id 0
		.amdhsa_next_free_vgpr 1
		.amdhsa_next_free_sgpr 0
		.amdhsa_accum_offset 4
		.amdhsa_reserve_vcc 0
		.amdhsa_float_round_mode_32 0
		.amdhsa_float_round_mode_16_64 0
		.amdhsa_float_denorm_mode_32 3
		.amdhsa_float_denorm_mode_16_64 3
		.amdhsa_dx10_clamp 1
		.amdhsa_ieee_mode 1
		.amdhsa_fp16_overflow 0
		.amdhsa_tg_split 0
		.amdhsa_exception_fp_ieee_invalid_op 0
		.amdhsa_exception_fp_denorm_src 0
		.amdhsa_exception_fp_ieee_div_zero 0
		.amdhsa_exception_fp_ieee_overflow 0
		.amdhsa_exception_fp_ieee_underflow 0
		.amdhsa_exception_fp_ieee_inexact 0
		.amdhsa_exception_int_div_zero 0
	.end_amdhsa_kernel
	.section	.text._ZN7rocprim17ROCPRIM_400000_NS6detail17trampoline_kernelINS0_14default_configENS1_25transform_config_selectorImLb1EEEZNS1_14transform_implILb1ES3_S5_PmS7_NS0_8identityIvEEEE10hipError_tT2_T3_mT4_P12ihipStream_tbEUlT_E_NS1_11comp_targetILNS1_3genE0ELNS1_11target_archE4294967295ELNS1_3gpuE0ELNS1_3repE0EEENS1_30default_config_static_selectorELNS0_4arch9wavefront6targetE1EEEvT1_,"axG",@progbits,_ZN7rocprim17ROCPRIM_400000_NS6detail17trampoline_kernelINS0_14default_configENS1_25transform_config_selectorImLb1EEEZNS1_14transform_implILb1ES3_S5_PmS7_NS0_8identityIvEEEE10hipError_tT2_T3_mT4_P12ihipStream_tbEUlT_E_NS1_11comp_targetILNS1_3genE0ELNS1_11target_archE4294967295ELNS1_3gpuE0ELNS1_3repE0EEENS1_30default_config_static_selectorELNS0_4arch9wavefront6targetE1EEEvT1_,comdat
.Lfunc_end102:
	.size	_ZN7rocprim17ROCPRIM_400000_NS6detail17trampoline_kernelINS0_14default_configENS1_25transform_config_selectorImLb1EEEZNS1_14transform_implILb1ES3_S5_PmS7_NS0_8identityIvEEEE10hipError_tT2_T3_mT4_P12ihipStream_tbEUlT_E_NS1_11comp_targetILNS1_3genE0ELNS1_11target_archE4294967295ELNS1_3gpuE0ELNS1_3repE0EEENS1_30default_config_static_selectorELNS0_4arch9wavefront6targetE1EEEvT1_, .Lfunc_end102-_ZN7rocprim17ROCPRIM_400000_NS6detail17trampoline_kernelINS0_14default_configENS1_25transform_config_selectorImLb1EEEZNS1_14transform_implILb1ES3_S5_PmS7_NS0_8identityIvEEEE10hipError_tT2_T3_mT4_P12ihipStream_tbEUlT_E_NS1_11comp_targetILNS1_3genE0ELNS1_11target_archE4294967295ELNS1_3gpuE0ELNS1_3repE0EEENS1_30default_config_static_selectorELNS0_4arch9wavefront6targetE1EEEvT1_
                                        ; -- End function
	.section	.AMDGPU.csdata,"",@progbits
; Kernel info:
; codeLenInByte = 0
; NumSgprs: 6
; NumVgprs: 0
; NumAgprs: 0
; TotalNumVgprs: 0
; ScratchSize: 0
; MemoryBound: 0
; FloatMode: 240
; IeeeMode: 1
; LDSByteSize: 0 bytes/workgroup (compile time only)
; SGPRBlocks: 0
; VGPRBlocks: 0
; NumSGPRsForWavesPerEU: 6
; NumVGPRsForWavesPerEU: 1
; AccumOffset: 4
; Occupancy: 8
; WaveLimiterHint : 0
; COMPUTE_PGM_RSRC2:SCRATCH_EN: 0
; COMPUTE_PGM_RSRC2:USER_SGPR: 2
; COMPUTE_PGM_RSRC2:TRAP_HANDLER: 0
; COMPUTE_PGM_RSRC2:TGID_X_EN: 1
; COMPUTE_PGM_RSRC2:TGID_Y_EN: 0
; COMPUTE_PGM_RSRC2:TGID_Z_EN: 0
; COMPUTE_PGM_RSRC2:TIDIG_COMP_CNT: 0
; COMPUTE_PGM_RSRC3_GFX90A:ACCUM_OFFSET: 0
; COMPUTE_PGM_RSRC3_GFX90A:TG_SPLIT: 0
	.section	.text._ZN7rocprim17ROCPRIM_400000_NS6detail17trampoline_kernelINS0_14default_configENS1_25transform_config_selectorImLb1EEEZNS1_14transform_implILb1ES3_S5_PmS7_NS0_8identityIvEEEE10hipError_tT2_T3_mT4_P12ihipStream_tbEUlT_E_NS1_11comp_targetILNS1_3genE10ELNS1_11target_archE1201ELNS1_3gpuE5ELNS1_3repE0EEENS1_30default_config_static_selectorELNS0_4arch9wavefront6targetE1EEEvT1_,"axG",@progbits,_ZN7rocprim17ROCPRIM_400000_NS6detail17trampoline_kernelINS0_14default_configENS1_25transform_config_selectorImLb1EEEZNS1_14transform_implILb1ES3_S5_PmS7_NS0_8identityIvEEEE10hipError_tT2_T3_mT4_P12ihipStream_tbEUlT_E_NS1_11comp_targetILNS1_3genE10ELNS1_11target_archE1201ELNS1_3gpuE5ELNS1_3repE0EEENS1_30default_config_static_selectorELNS0_4arch9wavefront6targetE1EEEvT1_,comdat
	.protected	_ZN7rocprim17ROCPRIM_400000_NS6detail17trampoline_kernelINS0_14default_configENS1_25transform_config_selectorImLb1EEEZNS1_14transform_implILb1ES3_S5_PmS7_NS0_8identityIvEEEE10hipError_tT2_T3_mT4_P12ihipStream_tbEUlT_E_NS1_11comp_targetILNS1_3genE10ELNS1_11target_archE1201ELNS1_3gpuE5ELNS1_3repE0EEENS1_30default_config_static_selectorELNS0_4arch9wavefront6targetE1EEEvT1_ ; -- Begin function _ZN7rocprim17ROCPRIM_400000_NS6detail17trampoline_kernelINS0_14default_configENS1_25transform_config_selectorImLb1EEEZNS1_14transform_implILb1ES3_S5_PmS7_NS0_8identityIvEEEE10hipError_tT2_T3_mT4_P12ihipStream_tbEUlT_E_NS1_11comp_targetILNS1_3genE10ELNS1_11target_archE1201ELNS1_3gpuE5ELNS1_3repE0EEENS1_30default_config_static_selectorELNS0_4arch9wavefront6targetE1EEEvT1_
	.globl	_ZN7rocprim17ROCPRIM_400000_NS6detail17trampoline_kernelINS0_14default_configENS1_25transform_config_selectorImLb1EEEZNS1_14transform_implILb1ES3_S5_PmS7_NS0_8identityIvEEEE10hipError_tT2_T3_mT4_P12ihipStream_tbEUlT_E_NS1_11comp_targetILNS1_3genE10ELNS1_11target_archE1201ELNS1_3gpuE5ELNS1_3repE0EEENS1_30default_config_static_selectorELNS0_4arch9wavefront6targetE1EEEvT1_
	.p2align	8
	.type	_ZN7rocprim17ROCPRIM_400000_NS6detail17trampoline_kernelINS0_14default_configENS1_25transform_config_selectorImLb1EEEZNS1_14transform_implILb1ES3_S5_PmS7_NS0_8identityIvEEEE10hipError_tT2_T3_mT4_P12ihipStream_tbEUlT_E_NS1_11comp_targetILNS1_3genE10ELNS1_11target_archE1201ELNS1_3gpuE5ELNS1_3repE0EEENS1_30default_config_static_selectorELNS0_4arch9wavefront6targetE1EEEvT1_,@function
_ZN7rocprim17ROCPRIM_400000_NS6detail17trampoline_kernelINS0_14default_configENS1_25transform_config_selectorImLb1EEEZNS1_14transform_implILb1ES3_S5_PmS7_NS0_8identityIvEEEE10hipError_tT2_T3_mT4_P12ihipStream_tbEUlT_E_NS1_11comp_targetILNS1_3genE10ELNS1_11target_archE1201ELNS1_3gpuE5ELNS1_3repE0EEENS1_30default_config_static_selectorELNS0_4arch9wavefront6targetE1EEEvT1_: ; @_ZN7rocprim17ROCPRIM_400000_NS6detail17trampoline_kernelINS0_14default_configENS1_25transform_config_selectorImLb1EEEZNS1_14transform_implILb1ES3_S5_PmS7_NS0_8identityIvEEEE10hipError_tT2_T3_mT4_P12ihipStream_tbEUlT_E_NS1_11comp_targetILNS1_3genE10ELNS1_11target_archE1201ELNS1_3gpuE5ELNS1_3repE0EEENS1_30default_config_static_selectorELNS0_4arch9wavefront6targetE1EEEvT1_
; %bb.0:
	.section	.rodata,"a",@progbits
	.p2align	6, 0x0
	.amdhsa_kernel _ZN7rocprim17ROCPRIM_400000_NS6detail17trampoline_kernelINS0_14default_configENS1_25transform_config_selectorImLb1EEEZNS1_14transform_implILb1ES3_S5_PmS7_NS0_8identityIvEEEE10hipError_tT2_T3_mT4_P12ihipStream_tbEUlT_E_NS1_11comp_targetILNS1_3genE10ELNS1_11target_archE1201ELNS1_3gpuE5ELNS1_3repE0EEENS1_30default_config_static_selectorELNS0_4arch9wavefront6targetE1EEEvT1_
		.amdhsa_group_segment_fixed_size 0
		.amdhsa_private_segment_fixed_size 0
		.amdhsa_kernarg_size 40
		.amdhsa_user_sgpr_count 2
		.amdhsa_user_sgpr_dispatch_ptr 0
		.amdhsa_user_sgpr_queue_ptr 0
		.amdhsa_user_sgpr_kernarg_segment_ptr 1
		.amdhsa_user_sgpr_dispatch_id 0
		.amdhsa_user_sgpr_kernarg_preload_length 0
		.amdhsa_user_sgpr_kernarg_preload_offset 0
		.amdhsa_user_sgpr_private_segment_size 0
		.amdhsa_uses_dynamic_stack 0
		.amdhsa_enable_private_segment 0
		.amdhsa_system_sgpr_workgroup_id_x 1
		.amdhsa_system_sgpr_workgroup_id_y 0
		.amdhsa_system_sgpr_workgroup_id_z 0
		.amdhsa_system_sgpr_workgroup_info 0
		.amdhsa_system_vgpr_workitem_id 0
		.amdhsa_next_free_vgpr 1
		.amdhsa_next_free_sgpr 0
		.amdhsa_accum_offset 4
		.amdhsa_reserve_vcc 0
		.amdhsa_float_round_mode_32 0
		.amdhsa_float_round_mode_16_64 0
		.amdhsa_float_denorm_mode_32 3
		.amdhsa_float_denorm_mode_16_64 3
		.amdhsa_dx10_clamp 1
		.amdhsa_ieee_mode 1
		.amdhsa_fp16_overflow 0
		.amdhsa_tg_split 0
		.amdhsa_exception_fp_ieee_invalid_op 0
		.amdhsa_exception_fp_denorm_src 0
		.amdhsa_exception_fp_ieee_div_zero 0
		.amdhsa_exception_fp_ieee_overflow 0
		.amdhsa_exception_fp_ieee_underflow 0
		.amdhsa_exception_fp_ieee_inexact 0
		.amdhsa_exception_int_div_zero 0
	.end_amdhsa_kernel
	.section	.text._ZN7rocprim17ROCPRIM_400000_NS6detail17trampoline_kernelINS0_14default_configENS1_25transform_config_selectorImLb1EEEZNS1_14transform_implILb1ES3_S5_PmS7_NS0_8identityIvEEEE10hipError_tT2_T3_mT4_P12ihipStream_tbEUlT_E_NS1_11comp_targetILNS1_3genE10ELNS1_11target_archE1201ELNS1_3gpuE5ELNS1_3repE0EEENS1_30default_config_static_selectorELNS0_4arch9wavefront6targetE1EEEvT1_,"axG",@progbits,_ZN7rocprim17ROCPRIM_400000_NS6detail17trampoline_kernelINS0_14default_configENS1_25transform_config_selectorImLb1EEEZNS1_14transform_implILb1ES3_S5_PmS7_NS0_8identityIvEEEE10hipError_tT2_T3_mT4_P12ihipStream_tbEUlT_E_NS1_11comp_targetILNS1_3genE10ELNS1_11target_archE1201ELNS1_3gpuE5ELNS1_3repE0EEENS1_30default_config_static_selectorELNS0_4arch9wavefront6targetE1EEEvT1_,comdat
.Lfunc_end103:
	.size	_ZN7rocprim17ROCPRIM_400000_NS6detail17trampoline_kernelINS0_14default_configENS1_25transform_config_selectorImLb1EEEZNS1_14transform_implILb1ES3_S5_PmS7_NS0_8identityIvEEEE10hipError_tT2_T3_mT4_P12ihipStream_tbEUlT_E_NS1_11comp_targetILNS1_3genE10ELNS1_11target_archE1201ELNS1_3gpuE5ELNS1_3repE0EEENS1_30default_config_static_selectorELNS0_4arch9wavefront6targetE1EEEvT1_, .Lfunc_end103-_ZN7rocprim17ROCPRIM_400000_NS6detail17trampoline_kernelINS0_14default_configENS1_25transform_config_selectorImLb1EEEZNS1_14transform_implILb1ES3_S5_PmS7_NS0_8identityIvEEEE10hipError_tT2_T3_mT4_P12ihipStream_tbEUlT_E_NS1_11comp_targetILNS1_3genE10ELNS1_11target_archE1201ELNS1_3gpuE5ELNS1_3repE0EEENS1_30default_config_static_selectorELNS0_4arch9wavefront6targetE1EEEvT1_
                                        ; -- End function
	.section	.AMDGPU.csdata,"",@progbits
; Kernel info:
; codeLenInByte = 0
; NumSgprs: 6
; NumVgprs: 0
; NumAgprs: 0
; TotalNumVgprs: 0
; ScratchSize: 0
; MemoryBound: 0
; FloatMode: 240
; IeeeMode: 1
; LDSByteSize: 0 bytes/workgroup (compile time only)
; SGPRBlocks: 0
; VGPRBlocks: 0
; NumSGPRsForWavesPerEU: 6
; NumVGPRsForWavesPerEU: 1
; AccumOffset: 4
; Occupancy: 8
; WaveLimiterHint : 0
; COMPUTE_PGM_RSRC2:SCRATCH_EN: 0
; COMPUTE_PGM_RSRC2:USER_SGPR: 2
; COMPUTE_PGM_RSRC2:TRAP_HANDLER: 0
; COMPUTE_PGM_RSRC2:TGID_X_EN: 1
; COMPUTE_PGM_RSRC2:TGID_Y_EN: 0
; COMPUTE_PGM_RSRC2:TGID_Z_EN: 0
; COMPUTE_PGM_RSRC2:TIDIG_COMP_CNT: 0
; COMPUTE_PGM_RSRC3_GFX90A:ACCUM_OFFSET: 0
; COMPUTE_PGM_RSRC3_GFX90A:TG_SPLIT: 0
	.section	.text._ZN7rocprim17ROCPRIM_400000_NS6detail17trampoline_kernelINS0_14default_configENS1_25transform_config_selectorImLb1EEEZNS1_14transform_implILb1ES3_S5_PmS7_NS0_8identityIvEEEE10hipError_tT2_T3_mT4_P12ihipStream_tbEUlT_E_NS1_11comp_targetILNS1_3genE5ELNS1_11target_archE942ELNS1_3gpuE9ELNS1_3repE0EEENS1_30default_config_static_selectorELNS0_4arch9wavefront6targetE1EEEvT1_,"axG",@progbits,_ZN7rocprim17ROCPRIM_400000_NS6detail17trampoline_kernelINS0_14default_configENS1_25transform_config_selectorImLb1EEEZNS1_14transform_implILb1ES3_S5_PmS7_NS0_8identityIvEEEE10hipError_tT2_T3_mT4_P12ihipStream_tbEUlT_E_NS1_11comp_targetILNS1_3genE5ELNS1_11target_archE942ELNS1_3gpuE9ELNS1_3repE0EEENS1_30default_config_static_selectorELNS0_4arch9wavefront6targetE1EEEvT1_,comdat
	.protected	_ZN7rocprim17ROCPRIM_400000_NS6detail17trampoline_kernelINS0_14default_configENS1_25transform_config_selectorImLb1EEEZNS1_14transform_implILb1ES3_S5_PmS7_NS0_8identityIvEEEE10hipError_tT2_T3_mT4_P12ihipStream_tbEUlT_E_NS1_11comp_targetILNS1_3genE5ELNS1_11target_archE942ELNS1_3gpuE9ELNS1_3repE0EEENS1_30default_config_static_selectorELNS0_4arch9wavefront6targetE1EEEvT1_ ; -- Begin function _ZN7rocprim17ROCPRIM_400000_NS6detail17trampoline_kernelINS0_14default_configENS1_25transform_config_selectorImLb1EEEZNS1_14transform_implILb1ES3_S5_PmS7_NS0_8identityIvEEEE10hipError_tT2_T3_mT4_P12ihipStream_tbEUlT_E_NS1_11comp_targetILNS1_3genE5ELNS1_11target_archE942ELNS1_3gpuE9ELNS1_3repE0EEENS1_30default_config_static_selectorELNS0_4arch9wavefront6targetE1EEEvT1_
	.globl	_ZN7rocprim17ROCPRIM_400000_NS6detail17trampoline_kernelINS0_14default_configENS1_25transform_config_selectorImLb1EEEZNS1_14transform_implILb1ES3_S5_PmS7_NS0_8identityIvEEEE10hipError_tT2_T3_mT4_P12ihipStream_tbEUlT_E_NS1_11comp_targetILNS1_3genE5ELNS1_11target_archE942ELNS1_3gpuE9ELNS1_3repE0EEENS1_30default_config_static_selectorELNS0_4arch9wavefront6targetE1EEEvT1_
	.p2align	8
	.type	_ZN7rocprim17ROCPRIM_400000_NS6detail17trampoline_kernelINS0_14default_configENS1_25transform_config_selectorImLb1EEEZNS1_14transform_implILb1ES3_S5_PmS7_NS0_8identityIvEEEE10hipError_tT2_T3_mT4_P12ihipStream_tbEUlT_E_NS1_11comp_targetILNS1_3genE5ELNS1_11target_archE942ELNS1_3gpuE9ELNS1_3repE0EEENS1_30default_config_static_selectorELNS0_4arch9wavefront6targetE1EEEvT1_,@function
_ZN7rocprim17ROCPRIM_400000_NS6detail17trampoline_kernelINS0_14default_configENS1_25transform_config_selectorImLb1EEEZNS1_14transform_implILb1ES3_S5_PmS7_NS0_8identityIvEEEE10hipError_tT2_T3_mT4_P12ihipStream_tbEUlT_E_NS1_11comp_targetILNS1_3genE5ELNS1_11target_archE942ELNS1_3gpuE9ELNS1_3repE0EEENS1_30default_config_static_selectorELNS0_4arch9wavefront6targetE1EEEvT1_: ; @_ZN7rocprim17ROCPRIM_400000_NS6detail17trampoline_kernelINS0_14default_configENS1_25transform_config_selectorImLb1EEEZNS1_14transform_implILb1ES3_S5_PmS7_NS0_8identityIvEEEE10hipError_tT2_T3_mT4_P12ihipStream_tbEUlT_E_NS1_11comp_targetILNS1_3genE5ELNS1_11target_archE942ELNS1_3gpuE9ELNS1_3repE0EEENS1_30default_config_static_selectorELNS0_4arch9wavefront6targetE1EEEvT1_
; %bb.0:
	s_load_dwordx8 s[4:11], s[0:1], 0x0
	s_load_dword s3, s[0:1], 0x28
	s_waitcnt lgkmcnt(0)
	s_lshl_b64 s[0:1], s[6:7], 3
	s_add_u32 s6, s4, s0
	s_addc_u32 s7, s5, s1
	s_add_u32 s9, s10, s0
	s_addc_u32 s10, s11, s1
	s_lshl_b32 s0, s2, 10
	s_mov_b32 s1, 0
	s_add_i32 s3, s3, -1
	s_lshl_b64 s[4:5], s[0:1], 3
	s_add_u32 s6, s6, s4
	s_addc_u32 s7, s7, s5
	s_cmp_lg_u32 s2, s3
	s_mov_b64 s[2:3], -1
	s_cbranch_scc0 .LBB104_2
; %bb.1:
	v_lshlrev_b32_e32 v1, 4, v0
	global_load_dwordx4 v[2:5], v1, s[6:7] nt
	s_add_u32 s2, s9, s4
	s_addc_u32 s3, s10, s5
	s_waitcnt vmcnt(0)
	global_store_dwordx4 v1, v[2:5], s[2:3]
	s_mov_b64 s[2:3], 0
.LBB104_2:
	s_andn2_b64 vcc, exec, s[2:3]
	s_cbranch_vccnz .LBB104_11
; %bb.3:
	s_sub_i32 s2, s8, s0
	v_cmp_gt_u32_e32 vcc, s2, v0
	v_lshlrev_b32_e32 v6, 3, v0
                                        ; implicit-def: $vgpr2_vgpr3_vgpr4_vgpr5
	s_and_saveexec_b64 s[0:1], vcc
	s_cbranch_execz .LBB104_5
; %bb.4:
	global_load_dwordx2 v[2:3], v6, s[6:7]
.LBB104_5:
	s_or_b64 exec, exec, s[0:1]
	v_or_b32_e32 v0, 0x200, v0
	v_cmp_gt_u32_e64 s[0:1], s2, v0
	s_and_saveexec_b64 s[2:3], s[0:1]
	s_cbranch_execz .LBB104_7
; %bb.6:
	v_lshlrev_b32_e32 v0, 3, v0
	global_load_dwordx2 v[4:5], v0, s[6:7]
.LBB104_7:
	s_or_b64 exec, exec, s[2:3]
	s_add_u32 s2, s9, s4
	s_addc_u32 s3, s10, s5
	v_mov_b32_e32 v7, 0
	v_lshl_add_u64 v[0:1], s[2:3], 0, v[6:7]
	s_and_saveexec_b64 s[2:3], vcc
	s_cbranch_execz .LBB104_9
; %bb.8:
	s_waitcnt vmcnt(0)
	global_store_dwordx2 v[0:1], v[2:3], off
.LBB104_9:
	s_or_b64 exec, exec, s[2:3]
	s_and_saveexec_b64 s[2:3], s[0:1]
	s_cbranch_execz .LBB104_11
; %bb.10:
	v_add_co_u32_e32 v0, vcc, 0x1000, v0
	s_nop 1
	v_addc_co_u32_e32 v1, vcc, 0, v1, vcc
	s_waitcnt vmcnt(0)
	global_store_dwordx2 v[0:1], v[4:5], off
.LBB104_11:
	s_endpgm
	.section	.rodata,"a",@progbits
	.p2align	6, 0x0
	.amdhsa_kernel _ZN7rocprim17ROCPRIM_400000_NS6detail17trampoline_kernelINS0_14default_configENS1_25transform_config_selectorImLb1EEEZNS1_14transform_implILb1ES3_S5_PmS7_NS0_8identityIvEEEE10hipError_tT2_T3_mT4_P12ihipStream_tbEUlT_E_NS1_11comp_targetILNS1_3genE5ELNS1_11target_archE942ELNS1_3gpuE9ELNS1_3repE0EEENS1_30default_config_static_selectorELNS0_4arch9wavefront6targetE1EEEvT1_
		.amdhsa_group_segment_fixed_size 0
		.amdhsa_private_segment_fixed_size 0
		.amdhsa_kernarg_size 296
		.amdhsa_user_sgpr_count 2
		.amdhsa_user_sgpr_dispatch_ptr 0
		.amdhsa_user_sgpr_queue_ptr 0
		.amdhsa_user_sgpr_kernarg_segment_ptr 1
		.amdhsa_user_sgpr_dispatch_id 0
		.amdhsa_user_sgpr_kernarg_preload_length 0
		.amdhsa_user_sgpr_kernarg_preload_offset 0
		.amdhsa_user_sgpr_private_segment_size 0
		.amdhsa_uses_dynamic_stack 0
		.amdhsa_enable_private_segment 0
		.amdhsa_system_sgpr_workgroup_id_x 1
		.amdhsa_system_sgpr_workgroup_id_y 0
		.amdhsa_system_sgpr_workgroup_id_z 0
		.amdhsa_system_sgpr_workgroup_info 0
		.amdhsa_system_vgpr_workitem_id 0
		.amdhsa_next_free_vgpr 8
		.amdhsa_next_free_sgpr 12
		.amdhsa_accum_offset 8
		.amdhsa_reserve_vcc 1
		.amdhsa_float_round_mode_32 0
		.amdhsa_float_round_mode_16_64 0
		.amdhsa_float_denorm_mode_32 3
		.amdhsa_float_denorm_mode_16_64 3
		.amdhsa_dx10_clamp 1
		.amdhsa_ieee_mode 1
		.amdhsa_fp16_overflow 0
		.amdhsa_tg_split 0
		.amdhsa_exception_fp_ieee_invalid_op 0
		.amdhsa_exception_fp_denorm_src 0
		.amdhsa_exception_fp_ieee_div_zero 0
		.amdhsa_exception_fp_ieee_overflow 0
		.amdhsa_exception_fp_ieee_underflow 0
		.amdhsa_exception_fp_ieee_inexact 0
		.amdhsa_exception_int_div_zero 0
	.end_amdhsa_kernel
	.section	.text._ZN7rocprim17ROCPRIM_400000_NS6detail17trampoline_kernelINS0_14default_configENS1_25transform_config_selectorImLb1EEEZNS1_14transform_implILb1ES3_S5_PmS7_NS0_8identityIvEEEE10hipError_tT2_T3_mT4_P12ihipStream_tbEUlT_E_NS1_11comp_targetILNS1_3genE5ELNS1_11target_archE942ELNS1_3gpuE9ELNS1_3repE0EEENS1_30default_config_static_selectorELNS0_4arch9wavefront6targetE1EEEvT1_,"axG",@progbits,_ZN7rocprim17ROCPRIM_400000_NS6detail17trampoline_kernelINS0_14default_configENS1_25transform_config_selectorImLb1EEEZNS1_14transform_implILb1ES3_S5_PmS7_NS0_8identityIvEEEE10hipError_tT2_T3_mT4_P12ihipStream_tbEUlT_E_NS1_11comp_targetILNS1_3genE5ELNS1_11target_archE942ELNS1_3gpuE9ELNS1_3repE0EEENS1_30default_config_static_selectorELNS0_4arch9wavefront6targetE1EEEvT1_,comdat
.Lfunc_end104:
	.size	_ZN7rocprim17ROCPRIM_400000_NS6detail17trampoline_kernelINS0_14default_configENS1_25transform_config_selectorImLb1EEEZNS1_14transform_implILb1ES3_S5_PmS7_NS0_8identityIvEEEE10hipError_tT2_T3_mT4_P12ihipStream_tbEUlT_E_NS1_11comp_targetILNS1_3genE5ELNS1_11target_archE942ELNS1_3gpuE9ELNS1_3repE0EEENS1_30default_config_static_selectorELNS0_4arch9wavefront6targetE1EEEvT1_, .Lfunc_end104-_ZN7rocprim17ROCPRIM_400000_NS6detail17trampoline_kernelINS0_14default_configENS1_25transform_config_selectorImLb1EEEZNS1_14transform_implILb1ES3_S5_PmS7_NS0_8identityIvEEEE10hipError_tT2_T3_mT4_P12ihipStream_tbEUlT_E_NS1_11comp_targetILNS1_3genE5ELNS1_11target_archE942ELNS1_3gpuE9ELNS1_3repE0EEENS1_30default_config_static_selectorELNS0_4arch9wavefront6targetE1EEEvT1_
                                        ; -- End function
	.section	.AMDGPU.csdata,"",@progbits
; Kernel info:
; codeLenInByte = 276
; NumSgprs: 18
; NumVgprs: 8
; NumAgprs: 0
; TotalNumVgprs: 8
; ScratchSize: 0
; MemoryBound: 1
; FloatMode: 240
; IeeeMode: 1
; LDSByteSize: 0 bytes/workgroup (compile time only)
; SGPRBlocks: 2
; VGPRBlocks: 0
; NumSGPRsForWavesPerEU: 18
; NumVGPRsForWavesPerEU: 8
; AccumOffset: 8
; Occupancy: 8
; WaveLimiterHint : 0
; COMPUTE_PGM_RSRC2:SCRATCH_EN: 0
; COMPUTE_PGM_RSRC2:USER_SGPR: 2
; COMPUTE_PGM_RSRC2:TRAP_HANDLER: 0
; COMPUTE_PGM_RSRC2:TGID_X_EN: 1
; COMPUTE_PGM_RSRC2:TGID_Y_EN: 0
; COMPUTE_PGM_RSRC2:TGID_Z_EN: 0
; COMPUTE_PGM_RSRC2:TIDIG_COMP_CNT: 0
; COMPUTE_PGM_RSRC3_GFX90A:ACCUM_OFFSET: 1
; COMPUTE_PGM_RSRC3_GFX90A:TG_SPLIT: 0
	.section	.text._ZN7rocprim17ROCPRIM_400000_NS6detail17trampoline_kernelINS0_14default_configENS1_25transform_config_selectorImLb1EEEZNS1_14transform_implILb1ES3_S5_PmS7_NS0_8identityIvEEEE10hipError_tT2_T3_mT4_P12ihipStream_tbEUlT_E_NS1_11comp_targetILNS1_3genE4ELNS1_11target_archE910ELNS1_3gpuE8ELNS1_3repE0EEENS1_30default_config_static_selectorELNS0_4arch9wavefront6targetE1EEEvT1_,"axG",@progbits,_ZN7rocprim17ROCPRIM_400000_NS6detail17trampoline_kernelINS0_14default_configENS1_25transform_config_selectorImLb1EEEZNS1_14transform_implILb1ES3_S5_PmS7_NS0_8identityIvEEEE10hipError_tT2_T3_mT4_P12ihipStream_tbEUlT_E_NS1_11comp_targetILNS1_3genE4ELNS1_11target_archE910ELNS1_3gpuE8ELNS1_3repE0EEENS1_30default_config_static_selectorELNS0_4arch9wavefront6targetE1EEEvT1_,comdat
	.protected	_ZN7rocprim17ROCPRIM_400000_NS6detail17trampoline_kernelINS0_14default_configENS1_25transform_config_selectorImLb1EEEZNS1_14transform_implILb1ES3_S5_PmS7_NS0_8identityIvEEEE10hipError_tT2_T3_mT4_P12ihipStream_tbEUlT_E_NS1_11comp_targetILNS1_3genE4ELNS1_11target_archE910ELNS1_3gpuE8ELNS1_3repE0EEENS1_30default_config_static_selectorELNS0_4arch9wavefront6targetE1EEEvT1_ ; -- Begin function _ZN7rocprim17ROCPRIM_400000_NS6detail17trampoline_kernelINS0_14default_configENS1_25transform_config_selectorImLb1EEEZNS1_14transform_implILb1ES3_S5_PmS7_NS0_8identityIvEEEE10hipError_tT2_T3_mT4_P12ihipStream_tbEUlT_E_NS1_11comp_targetILNS1_3genE4ELNS1_11target_archE910ELNS1_3gpuE8ELNS1_3repE0EEENS1_30default_config_static_selectorELNS0_4arch9wavefront6targetE1EEEvT1_
	.globl	_ZN7rocprim17ROCPRIM_400000_NS6detail17trampoline_kernelINS0_14default_configENS1_25transform_config_selectorImLb1EEEZNS1_14transform_implILb1ES3_S5_PmS7_NS0_8identityIvEEEE10hipError_tT2_T3_mT4_P12ihipStream_tbEUlT_E_NS1_11comp_targetILNS1_3genE4ELNS1_11target_archE910ELNS1_3gpuE8ELNS1_3repE0EEENS1_30default_config_static_selectorELNS0_4arch9wavefront6targetE1EEEvT1_
	.p2align	8
	.type	_ZN7rocprim17ROCPRIM_400000_NS6detail17trampoline_kernelINS0_14default_configENS1_25transform_config_selectorImLb1EEEZNS1_14transform_implILb1ES3_S5_PmS7_NS0_8identityIvEEEE10hipError_tT2_T3_mT4_P12ihipStream_tbEUlT_E_NS1_11comp_targetILNS1_3genE4ELNS1_11target_archE910ELNS1_3gpuE8ELNS1_3repE0EEENS1_30default_config_static_selectorELNS0_4arch9wavefront6targetE1EEEvT1_,@function
_ZN7rocprim17ROCPRIM_400000_NS6detail17trampoline_kernelINS0_14default_configENS1_25transform_config_selectorImLb1EEEZNS1_14transform_implILb1ES3_S5_PmS7_NS0_8identityIvEEEE10hipError_tT2_T3_mT4_P12ihipStream_tbEUlT_E_NS1_11comp_targetILNS1_3genE4ELNS1_11target_archE910ELNS1_3gpuE8ELNS1_3repE0EEENS1_30default_config_static_selectorELNS0_4arch9wavefront6targetE1EEEvT1_: ; @_ZN7rocprim17ROCPRIM_400000_NS6detail17trampoline_kernelINS0_14default_configENS1_25transform_config_selectorImLb1EEEZNS1_14transform_implILb1ES3_S5_PmS7_NS0_8identityIvEEEE10hipError_tT2_T3_mT4_P12ihipStream_tbEUlT_E_NS1_11comp_targetILNS1_3genE4ELNS1_11target_archE910ELNS1_3gpuE8ELNS1_3repE0EEENS1_30default_config_static_selectorELNS0_4arch9wavefront6targetE1EEEvT1_
; %bb.0:
	.section	.rodata,"a",@progbits
	.p2align	6, 0x0
	.amdhsa_kernel _ZN7rocprim17ROCPRIM_400000_NS6detail17trampoline_kernelINS0_14default_configENS1_25transform_config_selectorImLb1EEEZNS1_14transform_implILb1ES3_S5_PmS7_NS0_8identityIvEEEE10hipError_tT2_T3_mT4_P12ihipStream_tbEUlT_E_NS1_11comp_targetILNS1_3genE4ELNS1_11target_archE910ELNS1_3gpuE8ELNS1_3repE0EEENS1_30default_config_static_selectorELNS0_4arch9wavefront6targetE1EEEvT1_
		.amdhsa_group_segment_fixed_size 0
		.amdhsa_private_segment_fixed_size 0
		.amdhsa_kernarg_size 40
		.amdhsa_user_sgpr_count 2
		.amdhsa_user_sgpr_dispatch_ptr 0
		.amdhsa_user_sgpr_queue_ptr 0
		.amdhsa_user_sgpr_kernarg_segment_ptr 1
		.amdhsa_user_sgpr_dispatch_id 0
		.amdhsa_user_sgpr_kernarg_preload_length 0
		.amdhsa_user_sgpr_kernarg_preload_offset 0
		.amdhsa_user_sgpr_private_segment_size 0
		.amdhsa_uses_dynamic_stack 0
		.amdhsa_enable_private_segment 0
		.amdhsa_system_sgpr_workgroup_id_x 1
		.amdhsa_system_sgpr_workgroup_id_y 0
		.amdhsa_system_sgpr_workgroup_id_z 0
		.amdhsa_system_sgpr_workgroup_info 0
		.amdhsa_system_vgpr_workitem_id 0
		.amdhsa_next_free_vgpr 1
		.amdhsa_next_free_sgpr 0
		.amdhsa_accum_offset 4
		.amdhsa_reserve_vcc 0
		.amdhsa_float_round_mode_32 0
		.amdhsa_float_round_mode_16_64 0
		.amdhsa_float_denorm_mode_32 3
		.amdhsa_float_denorm_mode_16_64 3
		.amdhsa_dx10_clamp 1
		.amdhsa_ieee_mode 1
		.amdhsa_fp16_overflow 0
		.amdhsa_tg_split 0
		.amdhsa_exception_fp_ieee_invalid_op 0
		.amdhsa_exception_fp_denorm_src 0
		.amdhsa_exception_fp_ieee_div_zero 0
		.amdhsa_exception_fp_ieee_overflow 0
		.amdhsa_exception_fp_ieee_underflow 0
		.amdhsa_exception_fp_ieee_inexact 0
		.amdhsa_exception_int_div_zero 0
	.end_amdhsa_kernel
	.section	.text._ZN7rocprim17ROCPRIM_400000_NS6detail17trampoline_kernelINS0_14default_configENS1_25transform_config_selectorImLb1EEEZNS1_14transform_implILb1ES3_S5_PmS7_NS0_8identityIvEEEE10hipError_tT2_T3_mT4_P12ihipStream_tbEUlT_E_NS1_11comp_targetILNS1_3genE4ELNS1_11target_archE910ELNS1_3gpuE8ELNS1_3repE0EEENS1_30default_config_static_selectorELNS0_4arch9wavefront6targetE1EEEvT1_,"axG",@progbits,_ZN7rocprim17ROCPRIM_400000_NS6detail17trampoline_kernelINS0_14default_configENS1_25transform_config_selectorImLb1EEEZNS1_14transform_implILb1ES3_S5_PmS7_NS0_8identityIvEEEE10hipError_tT2_T3_mT4_P12ihipStream_tbEUlT_E_NS1_11comp_targetILNS1_3genE4ELNS1_11target_archE910ELNS1_3gpuE8ELNS1_3repE0EEENS1_30default_config_static_selectorELNS0_4arch9wavefront6targetE1EEEvT1_,comdat
.Lfunc_end105:
	.size	_ZN7rocprim17ROCPRIM_400000_NS6detail17trampoline_kernelINS0_14default_configENS1_25transform_config_selectorImLb1EEEZNS1_14transform_implILb1ES3_S5_PmS7_NS0_8identityIvEEEE10hipError_tT2_T3_mT4_P12ihipStream_tbEUlT_E_NS1_11comp_targetILNS1_3genE4ELNS1_11target_archE910ELNS1_3gpuE8ELNS1_3repE0EEENS1_30default_config_static_selectorELNS0_4arch9wavefront6targetE1EEEvT1_, .Lfunc_end105-_ZN7rocprim17ROCPRIM_400000_NS6detail17trampoline_kernelINS0_14default_configENS1_25transform_config_selectorImLb1EEEZNS1_14transform_implILb1ES3_S5_PmS7_NS0_8identityIvEEEE10hipError_tT2_T3_mT4_P12ihipStream_tbEUlT_E_NS1_11comp_targetILNS1_3genE4ELNS1_11target_archE910ELNS1_3gpuE8ELNS1_3repE0EEENS1_30default_config_static_selectorELNS0_4arch9wavefront6targetE1EEEvT1_
                                        ; -- End function
	.section	.AMDGPU.csdata,"",@progbits
; Kernel info:
; codeLenInByte = 0
; NumSgprs: 6
; NumVgprs: 0
; NumAgprs: 0
; TotalNumVgprs: 0
; ScratchSize: 0
; MemoryBound: 0
; FloatMode: 240
; IeeeMode: 1
; LDSByteSize: 0 bytes/workgroup (compile time only)
; SGPRBlocks: 0
; VGPRBlocks: 0
; NumSGPRsForWavesPerEU: 6
; NumVGPRsForWavesPerEU: 1
; AccumOffset: 4
; Occupancy: 8
; WaveLimiterHint : 0
; COMPUTE_PGM_RSRC2:SCRATCH_EN: 0
; COMPUTE_PGM_RSRC2:USER_SGPR: 2
; COMPUTE_PGM_RSRC2:TRAP_HANDLER: 0
; COMPUTE_PGM_RSRC2:TGID_X_EN: 1
; COMPUTE_PGM_RSRC2:TGID_Y_EN: 0
; COMPUTE_PGM_RSRC2:TGID_Z_EN: 0
; COMPUTE_PGM_RSRC2:TIDIG_COMP_CNT: 0
; COMPUTE_PGM_RSRC3_GFX90A:ACCUM_OFFSET: 0
; COMPUTE_PGM_RSRC3_GFX90A:TG_SPLIT: 0
	.section	.text._ZN7rocprim17ROCPRIM_400000_NS6detail17trampoline_kernelINS0_14default_configENS1_25transform_config_selectorImLb1EEEZNS1_14transform_implILb1ES3_S5_PmS7_NS0_8identityIvEEEE10hipError_tT2_T3_mT4_P12ihipStream_tbEUlT_E_NS1_11comp_targetILNS1_3genE3ELNS1_11target_archE908ELNS1_3gpuE7ELNS1_3repE0EEENS1_30default_config_static_selectorELNS0_4arch9wavefront6targetE1EEEvT1_,"axG",@progbits,_ZN7rocprim17ROCPRIM_400000_NS6detail17trampoline_kernelINS0_14default_configENS1_25transform_config_selectorImLb1EEEZNS1_14transform_implILb1ES3_S5_PmS7_NS0_8identityIvEEEE10hipError_tT2_T3_mT4_P12ihipStream_tbEUlT_E_NS1_11comp_targetILNS1_3genE3ELNS1_11target_archE908ELNS1_3gpuE7ELNS1_3repE0EEENS1_30default_config_static_selectorELNS0_4arch9wavefront6targetE1EEEvT1_,comdat
	.protected	_ZN7rocprim17ROCPRIM_400000_NS6detail17trampoline_kernelINS0_14default_configENS1_25transform_config_selectorImLb1EEEZNS1_14transform_implILb1ES3_S5_PmS7_NS0_8identityIvEEEE10hipError_tT2_T3_mT4_P12ihipStream_tbEUlT_E_NS1_11comp_targetILNS1_3genE3ELNS1_11target_archE908ELNS1_3gpuE7ELNS1_3repE0EEENS1_30default_config_static_selectorELNS0_4arch9wavefront6targetE1EEEvT1_ ; -- Begin function _ZN7rocprim17ROCPRIM_400000_NS6detail17trampoline_kernelINS0_14default_configENS1_25transform_config_selectorImLb1EEEZNS1_14transform_implILb1ES3_S5_PmS7_NS0_8identityIvEEEE10hipError_tT2_T3_mT4_P12ihipStream_tbEUlT_E_NS1_11comp_targetILNS1_3genE3ELNS1_11target_archE908ELNS1_3gpuE7ELNS1_3repE0EEENS1_30default_config_static_selectorELNS0_4arch9wavefront6targetE1EEEvT1_
	.globl	_ZN7rocprim17ROCPRIM_400000_NS6detail17trampoline_kernelINS0_14default_configENS1_25transform_config_selectorImLb1EEEZNS1_14transform_implILb1ES3_S5_PmS7_NS0_8identityIvEEEE10hipError_tT2_T3_mT4_P12ihipStream_tbEUlT_E_NS1_11comp_targetILNS1_3genE3ELNS1_11target_archE908ELNS1_3gpuE7ELNS1_3repE0EEENS1_30default_config_static_selectorELNS0_4arch9wavefront6targetE1EEEvT1_
	.p2align	8
	.type	_ZN7rocprim17ROCPRIM_400000_NS6detail17trampoline_kernelINS0_14default_configENS1_25transform_config_selectorImLb1EEEZNS1_14transform_implILb1ES3_S5_PmS7_NS0_8identityIvEEEE10hipError_tT2_T3_mT4_P12ihipStream_tbEUlT_E_NS1_11comp_targetILNS1_3genE3ELNS1_11target_archE908ELNS1_3gpuE7ELNS1_3repE0EEENS1_30default_config_static_selectorELNS0_4arch9wavefront6targetE1EEEvT1_,@function
_ZN7rocprim17ROCPRIM_400000_NS6detail17trampoline_kernelINS0_14default_configENS1_25transform_config_selectorImLb1EEEZNS1_14transform_implILb1ES3_S5_PmS7_NS0_8identityIvEEEE10hipError_tT2_T3_mT4_P12ihipStream_tbEUlT_E_NS1_11comp_targetILNS1_3genE3ELNS1_11target_archE908ELNS1_3gpuE7ELNS1_3repE0EEENS1_30default_config_static_selectorELNS0_4arch9wavefront6targetE1EEEvT1_: ; @_ZN7rocprim17ROCPRIM_400000_NS6detail17trampoline_kernelINS0_14default_configENS1_25transform_config_selectorImLb1EEEZNS1_14transform_implILb1ES3_S5_PmS7_NS0_8identityIvEEEE10hipError_tT2_T3_mT4_P12ihipStream_tbEUlT_E_NS1_11comp_targetILNS1_3genE3ELNS1_11target_archE908ELNS1_3gpuE7ELNS1_3repE0EEENS1_30default_config_static_selectorELNS0_4arch9wavefront6targetE1EEEvT1_
; %bb.0:
	.section	.rodata,"a",@progbits
	.p2align	6, 0x0
	.amdhsa_kernel _ZN7rocprim17ROCPRIM_400000_NS6detail17trampoline_kernelINS0_14default_configENS1_25transform_config_selectorImLb1EEEZNS1_14transform_implILb1ES3_S5_PmS7_NS0_8identityIvEEEE10hipError_tT2_T3_mT4_P12ihipStream_tbEUlT_E_NS1_11comp_targetILNS1_3genE3ELNS1_11target_archE908ELNS1_3gpuE7ELNS1_3repE0EEENS1_30default_config_static_selectorELNS0_4arch9wavefront6targetE1EEEvT1_
		.amdhsa_group_segment_fixed_size 0
		.amdhsa_private_segment_fixed_size 0
		.amdhsa_kernarg_size 40
		.amdhsa_user_sgpr_count 2
		.amdhsa_user_sgpr_dispatch_ptr 0
		.amdhsa_user_sgpr_queue_ptr 0
		.amdhsa_user_sgpr_kernarg_segment_ptr 1
		.amdhsa_user_sgpr_dispatch_id 0
		.amdhsa_user_sgpr_kernarg_preload_length 0
		.amdhsa_user_sgpr_kernarg_preload_offset 0
		.amdhsa_user_sgpr_private_segment_size 0
		.amdhsa_uses_dynamic_stack 0
		.amdhsa_enable_private_segment 0
		.amdhsa_system_sgpr_workgroup_id_x 1
		.amdhsa_system_sgpr_workgroup_id_y 0
		.amdhsa_system_sgpr_workgroup_id_z 0
		.amdhsa_system_sgpr_workgroup_info 0
		.amdhsa_system_vgpr_workitem_id 0
		.amdhsa_next_free_vgpr 1
		.amdhsa_next_free_sgpr 0
		.amdhsa_accum_offset 4
		.amdhsa_reserve_vcc 0
		.amdhsa_float_round_mode_32 0
		.amdhsa_float_round_mode_16_64 0
		.amdhsa_float_denorm_mode_32 3
		.amdhsa_float_denorm_mode_16_64 3
		.amdhsa_dx10_clamp 1
		.amdhsa_ieee_mode 1
		.amdhsa_fp16_overflow 0
		.amdhsa_tg_split 0
		.amdhsa_exception_fp_ieee_invalid_op 0
		.amdhsa_exception_fp_denorm_src 0
		.amdhsa_exception_fp_ieee_div_zero 0
		.amdhsa_exception_fp_ieee_overflow 0
		.amdhsa_exception_fp_ieee_underflow 0
		.amdhsa_exception_fp_ieee_inexact 0
		.amdhsa_exception_int_div_zero 0
	.end_amdhsa_kernel
	.section	.text._ZN7rocprim17ROCPRIM_400000_NS6detail17trampoline_kernelINS0_14default_configENS1_25transform_config_selectorImLb1EEEZNS1_14transform_implILb1ES3_S5_PmS7_NS0_8identityIvEEEE10hipError_tT2_T3_mT4_P12ihipStream_tbEUlT_E_NS1_11comp_targetILNS1_3genE3ELNS1_11target_archE908ELNS1_3gpuE7ELNS1_3repE0EEENS1_30default_config_static_selectorELNS0_4arch9wavefront6targetE1EEEvT1_,"axG",@progbits,_ZN7rocprim17ROCPRIM_400000_NS6detail17trampoline_kernelINS0_14default_configENS1_25transform_config_selectorImLb1EEEZNS1_14transform_implILb1ES3_S5_PmS7_NS0_8identityIvEEEE10hipError_tT2_T3_mT4_P12ihipStream_tbEUlT_E_NS1_11comp_targetILNS1_3genE3ELNS1_11target_archE908ELNS1_3gpuE7ELNS1_3repE0EEENS1_30default_config_static_selectorELNS0_4arch9wavefront6targetE1EEEvT1_,comdat
.Lfunc_end106:
	.size	_ZN7rocprim17ROCPRIM_400000_NS6detail17trampoline_kernelINS0_14default_configENS1_25transform_config_selectorImLb1EEEZNS1_14transform_implILb1ES3_S5_PmS7_NS0_8identityIvEEEE10hipError_tT2_T3_mT4_P12ihipStream_tbEUlT_E_NS1_11comp_targetILNS1_3genE3ELNS1_11target_archE908ELNS1_3gpuE7ELNS1_3repE0EEENS1_30default_config_static_selectorELNS0_4arch9wavefront6targetE1EEEvT1_, .Lfunc_end106-_ZN7rocprim17ROCPRIM_400000_NS6detail17trampoline_kernelINS0_14default_configENS1_25transform_config_selectorImLb1EEEZNS1_14transform_implILb1ES3_S5_PmS7_NS0_8identityIvEEEE10hipError_tT2_T3_mT4_P12ihipStream_tbEUlT_E_NS1_11comp_targetILNS1_3genE3ELNS1_11target_archE908ELNS1_3gpuE7ELNS1_3repE0EEENS1_30default_config_static_selectorELNS0_4arch9wavefront6targetE1EEEvT1_
                                        ; -- End function
	.section	.AMDGPU.csdata,"",@progbits
; Kernel info:
; codeLenInByte = 0
; NumSgprs: 6
; NumVgprs: 0
; NumAgprs: 0
; TotalNumVgprs: 0
; ScratchSize: 0
; MemoryBound: 0
; FloatMode: 240
; IeeeMode: 1
; LDSByteSize: 0 bytes/workgroup (compile time only)
; SGPRBlocks: 0
; VGPRBlocks: 0
; NumSGPRsForWavesPerEU: 6
; NumVGPRsForWavesPerEU: 1
; AccumOffset: 4
; Occupancy: 8
; WaveLimiterHint : 0
; COMPUTE_PGM_RSRC2:SCRATCH_EN: 0
; COMPUTE_PGM_RSRC2:USER_SGPR: 2
; COMPUTE_PGM_RSRC2:TRAP_HANDLER: 0
; COMPUTE_PGM_RSRC2:TGID_X_EN: 1
; COMPUTE_PGM_RSRC2:TGID_Y_EN: 0
; COMPUTE_PGM_RSRC2:TGID_Z_EN: 0
; COMPUTE_PGM_RSRC2:TIDIG_COMP_CNT: 0
; COMPUTE_PGM_RSRC3_GFX90A:ACCUM_OFFSET: 0
; COMPUTE_PGM_RSRC3_GFX90A:TG_SPLIT: 0
	.section	.text._ZN7rocprim17ROCPRIM_400000_NS6detail17trampoline_kernelINS0_14default_configENS1_25transform_config_selectorImLb1EEEZNS1_14transform_implILb1ES3_S5_PmS7_NS0_8identityIvEEEE10hipError_tT2_T3_mT4_P12ihipStream_tbEUlT_E_NS1_11comp_targetILNS1_3genE2ELNS1_11target_archE906ELNS1_3gpuE6ELNS1_3repE0EEENS1_30default_config_static_selectorELNS0_4arch9wavefront6targetE1EEEvT1_,"axG",@progbits,_ZN7rocprim17ROCPRIM_400000_NS6detail17trampoline_kernelINS0_14default_configENS1_25transform_config_selectorImLb1EEEZNS1_14transform_implILb1ES3_S5_PmS7_NS0_8identityIvEEEE10hipError_tT2_T3_mT4_P12ihipStream_tbEUlT_E_NS1_11comp_targetILNS1_3genE2ELNS1_11target_archE906ELNS1_3gpuE6ELNS1_3repE0EEENS1_30default_config_static_selectorELNS0_4arch9wavefront6targetE1EEEvT1_,comdat
	.protected	_ZN7rocprim17ROCPRIM_400000_NS6detail17trampoline_kernelINS0_14default_configENS1_25transform_config_selectorImLb1EEEZNS1_14transform_implILb1ES3_S5_PmS7_NS0_8identityIvEEEE10hipError_tT2_T3_mT4_P12ihipStream_tbEUlT_E_NS1_11comp_targetILNS1_3genE2ELNS1_11target_archE906ELNS1_3gpuE6ELNS1_3repE0EEENS1_30default_config_static_selectorELNS0_4arch9wavefront6targetE1EEEvT1_ ; -- Begin function _ZN7rocprim17ROCPRIM_400000_NS6detail17trampoline_kernelINS0_14default_configENS1_25transform_config_selectorImLb1EEEZNS1_14transform_implILb1ES3_S5_PmS7_NS0_8identityIvEEEE10hipError_tT2_T3_mT4_P12ihipStream_tbEUlT_E_NS1_11comp_targetILNS1_3genE2ELNS1_11target_archE906ELNS1_3gpuE6ELNS1_3repE0EEENS1_30default_config_static_selectorELNS0_4arch9wavefront6targetE1EEEvT1_
	.globl	_ZN7rocprim17ROCPRIM_400000_NS6detail17trampoline_kernelINS0_14default_configENS1_25transform_config_selectorImLb1EEEZNS1_14transform_implILb1ES3_S5_PmS7_NS0_8identityIvEEEE10hipError_tT2_T3_mT4_P12ihipStream_tbEUlT_E_NS1_11comp_targetILNS1_3genE2ELNS1_11target_archE906ELNS1_3gpuE6ELNS1_3repE0EEENS1_30default_config_static_selectorELNS0_4arch9wavefront6targetE1EEEvT1_
	.p2align	8
	.type	_ZN7rocprim17ROCPRIM_400000_NS6detail17trampoline_kernelINS0_14default_configENS1_25transform_config_selectorImLb1EEEZNS1_14transform_implILb1ES3_S5_PmS7_NS0_8identityIvEEEE10hipError_tT2_T3_mT4_P12ihipStream_tbEUlT_E_NS1_11comp_targetILNS1_3genE2ELNS1_11target_archE906ELNS1_3gpuE6ELNS1_3repE0EEENS1_30default_config_static_selectorELNS0_4arch9wavefront6targetE1EEEvT1_,@function
_ZN7rocprim17ROCPRIM_400000_NS6detail17trampoline_kernelINS0_14default_configENS1_25transform_config_selectorImLb1EEEZNS1_14transform_implILb1ES3_S5_PmS7_NS0_8identityIvEEEE10hipError_tT2_T3_mT4_P12ihipStream_tbEUlT_E_NS1_11comp_targetILNS1_3genE2ELNS1_11target_archE906ELNS1_3gpuE6ELNS1_3repE0EEENS1_30default_config_static_selectorELNS0_4arch9wavefront6targetE1EEEvT1_: ; @_ZN7rocprim17ROCPRIM_400000_NS6detail17trampoline_kernelINS0_14default_configENS1_25transform_config_selectorImLb1EEEZNS1_14transform_implILb1ES3_S5_PmS7_NS0_8identityIvEEEE10hipError_tT2_T3_mT4_P12ihipStream_tbEUlT_E_NS1_11comp_targetILNS1_3genE2ELNS1_11target_archE906ELNS1_3gpuE6ELNS1_3repE0EEENS1_30default_config_static_selectorELNS0_4arch9wavefront6targetE1EEEvT1_
; %bb.0:
	.section	.rodata,"a",@progbits
	.p2align	6, 0x0
	.amdhsa_kernel _ZN7rocprim17ROCPRIM_400000_NS6detail17trampoline_kernelINS0_14default_configENS1_25transform_config_selectorImLb1EEEZNS1_14transform_implILb1ES3_S5_PmS7_NS0_8identityIvEEEE10hipError_tT2_T3_mT4_P12ihipStream_tbEUlT_E_NS1_11comp_targetILNS1_3genE2ELNS1_11target_archE906ELNS1_3gpuE6ELNS1_3repE0EEENS1_30default_config_static_selectorELNS0_4arch9wavefront6targetE1EEEvT1_
		.amdhsa_group_segment_fixed_size 0
		.amdhsa_private_segment_fixed_size 0
		.amdhsa_kernarg_size 40
		.amdhsa_user_sgpr_count 2
		.amdhsa_user_sgpr_dispatch_ptr 0
		.amdhsa_user_sgpr_queue_ptr 0
		.amdhsa_user_sgpr_kernarg_segment_ptr 1
		.amdhsa_user_sgpr_dispatch_id 0
		.amdhsa_user_sgpr_kernarg_preload_length 0
		.amdhsa_user_sgpr_kernarg_preload_offset 0
		.amdhsa_user_sgpr_private_segment_size 0
		.amdhsa_uses_dynamic_stack 0
		.amdhsa_enable_private_segment 0
		.amdhsa_system_sgpr_workgroup_id_x 1
		.amdhsa_system_sgpr_workgroup_id_y 0
		.amdhsa_system_sgpr_workgroup_id_z 0
		.amdhsa_system_sgpr_workgroup_info 0
		.amdhsa_system_vgpr_workitem_id 0
		.amdhsa_next_free_vgpr 1
		.amdhsa_next_free_sgpr 0
		.amdhsa_accum_offset 4
		.amdhsa_reserve_vcc 0
		.amdhsa_float_round_mode_32 0
		.amdhsa_float_round_mode_16_64 0
		.amdhsa_float_denorm_mode_32 3
		.amdhsa_float_denorm_mode_16_64 3
		.amdhsa_dx10_clamp 1
		.amdhsa_ieee_mode 1
		.amdhsa_fp16_overflow 0
		.amdhsa_tg_split 0
		.amdhsa_exception_fp_ieee_invalid_op 0
		.amdhsa_exception_fp_denorm_src 0
		.amdhsa_exception_fp_ieee_div_zero 0
		.amdhsa_exception_fp_ieee_overflow 0
		.amdhsa_exception_fp_ieee_underflow 0
		.amdhsa_exception_fp_ieee_inexact 0
		.amdhsa_exception_int_div_zero 0
	.end_amdhsa_kernel
	.section	.text._ZN7rocprim17ROCPRIM_400000_NS6detail17trampoline_kernelINS0_14default_configENS1_25transform_config_selectorImLb1EEEZNS1_14transform_implILb1ES3_S5_PmS7_NS0_8identityIvEEEE10hipError_tT2_T3_mT4_P12ihipStream_tbEUlT_E_NS1_11comp_targetILNS1_3genE2ELNS1_11target_archE906ELNS1_3gpuE6ELNS1_3repE0EEENS1_30default_config_static_selectorELNS0_4arch9wavefront6targetE1EEEvT1_,"axG",@progbits,_ZN7rocprim17ROCPRIM_400000_NS6detail17trampoline_kernelINS0_14default_configENS1_25transform_config_selectorImLb1EEEZNS1_14transform_implILb1ES3_S5_PmS7_NS0_8identityIvEEEE10hipError_tT2_T3_mT4_P12ihipStream_tbEUlT_E_NS1_11comp_targetILNS1_3genE2ELNS1_11target_archE906ELNS1_3gpuE6ELNS1_3repE0EEENS1_30default_config_static_selectorELNS0_4arch9wavefront6targetE1EEEvT1_,comdat
.Lfunc_end107:
	.size	_ZN7rocprim17ROCPRIM_400000_NS6detail17trampoline_kernelINS0_14default_configENS1_25transform_config_selectorImLb1EEEZNS1_14transform_implILb1ES3_S5_PmS7_NS0_8identityIvEEEE10hipError_tT2_T3_mT4_P12ihipStream_tbEUlT_E_NS1_11comp_targetILNS1_3genE2ELNS1_11target_archE906ELNS1_3gpuE6ELNS1_3repE0EEENS1_30default_config_static_selectorELNS0_4arch9wavefront6targetE1EEEvT1_, .Lfunc_end107-_ZN7rocprim17ROCPRIM_400000_NS6detail17trampoline_kernelINS0_14default_configENS1_25transform_config_selectorImLb1EEEZNS1_14transform_implILb1ES3_S5_PmS7_NS0_8identityIvEEEE10hipError_tT2_T3_mT4_P12ihipStream_tbEUlT_E_NS1_11comp_targetILNS1_3genE2ELNS1_11target_archE906ELNS1_3gpuE6ELNS1_3repE0EEENS1_30default_config_static_selectorELNS0_4arch9wavefront6targetE1EEEvT1_
                                        ; -- End function
	.section	.AMDGPU.csdata,"",@progbits
; Kernel info:
; codeLenInByte = 0
; NumSgprs: 6
; NumVgprs: 0
; NumAgprs: 0
; TotalNumVgprs: 0
; ScratchSize: 0
; MemoryBound: 0
; FloatMode: 240
; IeeeMode: 1
; LDSByteSize: 0 bytes/workgroup (compile time only)
; SGPRBlocks: 0
; VGPRBlocks: 0
; NumSGPRsForWavesPerEU: 6
; NumVGPRsForWavesPerEU: 1
; AccumOffset: 4
; Occupancy: 8
; WaveLimiterHint : 0
; COMPUTE_PGM_RSRC2:SCRATCH_EN: 0
; COMPUTE_PGM_RSRC2:USER_SGPR: 2
; COMPUTE_PGM_RSRC2:TRAP_HANDLER: 0
; COMPUTE_PGM_RSRC2:TGID_X_EN: 1
; COMPUTE_PGM_RSRC2:TGID_Y_EN: 0
; COMPUTE_PGM_RSRC2:TGID_Z_EN: 0
; COMPUTE_PGM_RSRC2:TIDIG_COMP_CNT: 0
; COMPUTE_PGM_RSRC3_GFX90A:ACCUM_OFFSET: 0
; COMPUTE_PGM_RSRC3_GFX90A:TG_SPLIT: 0
	.section	.text._ZN7rocprim17ROCPRIM_400000_NS6detail17trampoline_kernelINS0_14default_configENS1_25transform_config_selectorImLb1EEEZNS1_14transform_implILb1ES3_S5_PmS7_NS0_8identityIvEEEE10hipError_tT2_T3_mT4_P12ihipStream_tbEUlT_E_NS1_11comp_targetILNS1_3genE9ELNS1_11target_archE1100ELNS1_3gpuE3ELNS1_3repE0EEENS1_30default_config_static_selectorELNS0_4arch9wavefront6targetE1EEEvT1_,"axG",@progbits,_ZN7rocprim17ROCPRIM_400000_NS6detail17trampoline_kernelINS0_14default_configENS1_25transform_config_selectorImLb1EEEZNS1_14transform_implILb1ES3_S5_PmS7_NS0_8identityIvEEEE10hipError_tT2_T3_mT4_P12ihipStream_tbEUlT_E_NS1_11comp_targetILNS1_3genE9ELNS1_11target_archE1100ELNS1_3gpuE3ELNS1_3repE0EEENS1_30default_config_static_selectorELNS0_4arch9wavefront6targetE1EEEvT1_,comdat
	.protected	_ZN7rocprim17ROCPRIM_400000_NS6detail17trampoline_kernelINS0_14default_configENS1_25transform_config_selectorImLb1EEEZNS1_14transform_implILb1ES3_S5_PmS7_NS0_8identityIvEEEE10hipError_tT2_T3_mT4_P12ihipStream_tbEUlT_E_NS1_11comp_targetILNS1_3genE9ELNS1_11target_archE1100ELNS1_3gpuE3ELNS1_3repE0EEENS1_30default_config_static_selectorELNS0_4arch9wavefront6targetE1EEEvT1_ ; -- Begin function _ZN7rocprim17ROCPRIM_400000_NS6detail17trampoline_kernelINS0_14default_configENS1_25transform_config_selectorImLb1EEEZNS1_14transform_implILb1ES3_S5_PmS7_NS0_8identityIvEEEE10hipError_tT2_T3_mT4_P12ihipStream_tbEUlT_E_NS1_11comp_targetILNS1_3genE9ELNS1_11target_archE1100ELNS1_3gpuE3ELNS1_3repE0EEENS1_30default_config_static_selectorELNS0_4arch9wavefront6targetE1EEEvT1_
	.globl	_ZN7rocprim17ROCPRIM_400000_NS6detail17trampoline_kernelINS0_14default_configENS1_25transform_config_selectorImLb1EEEZNS1_14transform_implILb1ES3_S5_PmS7_NS0_8identityIvEEEE10hipError_tT2_T3_mT4_P12ihipStream_tbEUlT_E_NS1_11comp_targetILNS1_3genE9ELNS1_11target_archE1100ELNS1_3gpuE3ELNS1_3repE0EEENS1_30default_config_static_selectorELNS0_4arch9wavefront6targetE1EEEvT1_
	.p2align	8
	.type	_ZN7rocprim17ROCPRIM_400000_NS6detail17trampoline_kernelINS0_14default_configENS1_25transform_config_selectorImLb1EEEZNS1_14transform_implILb1ES3_S5_PmS7_NS0_8identityIvEEEE10hipError_tT2_T3_mT4_P12ihipStream_tbEUlT_E_NS1_11comp_targetILNS1_3genE9ELNS1_11target_archE1100ELNS1_3gpuE3ELNS1_3repE0EEENS1_30default_config_static_selectorELNS0_4arch9wavefront6targetE1EEEvT1_,@function
_ZN7rocprim17ROCPRIM_400000_NS6detail17trampoline_kernelINS0_14default_configENS1_25transform_config_selectorImLb1EEEZNS1_14transform_implILb1ES3_S5_PmS7_NS0_8identityIvEEEE10hipError_tT2_T3_mT4_P12ihipStream_tbEUlT_E_NS1_11comp_targetILNS1_3genE9ELNS1_11target_archE1100ELNS1_3gpuE3ELNS1_3repE0EEENS1_30default_config_static_selectorELNS0_4arch9wavefront6targetE1EEEvT1_: ; @_ZN7rocprim17ROCPRIM_400000_NS6detail17trampoline_kernelINS0_14default_configENS1_25transform_config_selectorImLb1EEEZNS1_14transform_implILb1ES3_S5_PmS7_NS0_8identityIvEEEE10hipError_tT2_T3_mT4_P12ihipStream_tbEUlT_E_NS1_11comp_targetILNS1_3genE9ELNS1_11target_archE1100ELNS1_3gpuE3ELNS1_3repE0EEENS1_30default_config_static_selectorELNS0_4arch9wavefront6targetE1EEEvT1_
; %bb.0:
	.section	.rodata,"a",@progbits
	.p2align	6, 0x0
	.amdhsa_kernel _ZN7rocprim17ROCPRIM_400000_NS6detail17trampoline_kernelINS0_14default_configENS1_25transform_config_selectorImLb1EEEZNS1_14transform_implILb1ES3_S5_PmS7_NS0_8identityIvEEEE10hipError_tT2_T3_mT4_P12ihipStream_tbEUlT_E_NS1_11comp_targetILNS1_3genE9ELNS1_11target_archE1100ELNS1_3gpuE3ELNS1_3repE0EEENS1_30default_config_static_selectorELNS0_4arch9wavefront6targetE1EEEvT1_
		.amdhsa_group_segment_fixed_size 0
		.amdhsa_private_segment_fixed_size 0
		.amdhsa_kernarg_size 40
		.amdhsa_user_sgpr_count 2
		.amdhsa_user_sgpr_dispatch_ptr 0
		.amdhsa_user_sgpr_queue_ptr 0
		.amdhsa_user_sgpr_kernarg_segment_ptr 1
		.amdhsa_user_sgpr_dispatch_id 0
		.amdhsa_user_sgpr_kernarg_preload_length 0
		.amdhsa_user_sgpr_kernarg_preload_offset 0
		.amdhsa_user_sgpr_private_segment_size 0
		.amdhsa_uses_dynamic_stack 0
		.amdhsa_enable_private_segment 0
		.amdhsa_system_sgpr_workgroup_id_x 1
		.amdhsa_system_sgpr_workgroup_id_y 0
		.amdhsa_system_sgpr_workgroup_id_z 0
		.amdhsa_system_sgpr_workgroup_info 0
		.amdhsa_system_vgpr_workitem_id 0
		.amdhsa_next_free_vgpr 1
		.amdhsa_next_free_sgpr 0
		.amdhsa_accum_offset 4
		.amdhsa_reserve_vcc 0
		.amdhsa_float_round_mode_32 0
		.amdhsa_float_round_mode_16_64 0
		.amdhsa_float_denorm_mode_32 3
		.amdhsa_float_denorm_mode_16_64 3
		.amdhsa_dx10_clamp 1
		.amdhsa_ieee_mode 1
		.amdhsa_fp16_overflow 0
		.amdhsa_tg_split 0
		.amdhsa_exception_fp_ieee_invalid_op 0
		.amdhsa_exception_fp_denorm_src 0
		.amdhsa_exception_fp_ieee_div_zero 0
		.amdhsa_exception_fp_ieee_overflow 0
		.amdhsa_exception_fp_ieee_underflow 0
		.amdhsa_exception_fp_ieee_inexact 0
		.amdhsa_exception_int_div_zero 0
	.end_amdhsa_kernel
	.section	.text._ZN7rocprim17ROCPRIM_400000_NS6detail17trampoline_kernelINS0_14default_configENS1_25transform_config_selectorImLb1EEEZNS1_14transform_implILb1ES3_S5_PmS7_NS0_8identityIvEEEE10hipError_tT2_T3_mT4_P12ihipStream_tbEUlT_E_NS1_11comp_targetILNS1_3genE9ELNS1_11target_archE1100ELNS1_3gpuE3ELNS1_3repE0EEENS1_30default_config_static_selectorELNS0_4arch9wavefront6targetE1EEEvT1_,"axG",@progbits,_ZN7rocprim17ROCPRIM_400000_NS6detail17trampoline_kernelINS0_14default_configENS1_25transform_config_selectorImLb1EEEZNS1_14transform_implILb1ES3_S5_PmS7_NS0_8identityIvEEEE10hipError_tT2_T3_mT4_P12ihipStream_tbEUlT_E_NS1_11comp_targetILNS1_3genE9ELNS1_11target_archE1100ELNS1_3gpuE3ELNS1_3repE0EEENS1_30default_config_static_selectorELNS0_4arch9wavefront6targetE1EEEvT1_,comdat
.Lfunc_end108:
	.size	_ZN7rocprim17ROCPRIM_400000_NS6detail17trampoline_kernelINS0_14default_configENS1_25transform_config_selectorImLb1EEEZNS1_14transform_implILb1ES3_S5_PmS7_NS0_8identityIvEEEE10hipError_tT2_T3_mT4_P12ihipStream_tbEUlT_E_NS1_11comp_targetILNS1_3genE9ELNS1_11target_archE1100ELNS1_3gpuE3ELNS1_3repE0EEENS1_30default_config_static_selectorELNS0_4arch9wavefront6targetE1EEEvT1_, .Lfunc_end108-_ZN7rocprim17ROCPRIM_400000_NS6detail17trampoline_kernelINS0_14default_configENS1_25transform_config_selectorImLb1EEEZNS1_14transform_implILb1ES3_S5_PmS7_NS0_8identityIvEEEE10hipError_tT2_T3_mT4_P12ihipStream_tbEUlT_E_NS1_11comp_targetILNS1_3genE9ELNS1_11target_archE1100ELNS1_3gpuE3ELNS1_3repE0EEENS1_30default_config_static_selectorELNS0_4arch9wavefront6targetE1EEEvT1_
                                        ; -- End function
	.section	.AMDGPU.csdata,"",@progbits
; Kernel info:
; codeLenInByte = 0
; NumSgprs: 6
; NumVgprs: 0
; NumAgprs: 0
; TotalNumVgprs: 0
; ScratchSize: 0
; MemoryBound: 0
; FloatMode: 240
; IeeeMode: 1
; LDSByteSize: 0 bytes/workgroup (compile time only)
; SGPRBlocks: 0
; VGPRBlocks: 0
; NumSGPRsForWavesPerEU: 6
; NumVGPRsForWavesPerEU: 1
; AccumOffset: 4
; Occupancy: 8
; WaveLimiterHint : 0
; COMPUTE_PGM_RSRC2:SCRATCH_EN: 0
; COMPUTE_PGM_RSRC2:USER_SGPR: 2
; COMPUTE_PGM_RSRC2:TRAP_HANDLER: 0
; COMPUTE_PGM_RSRC2:TGID_X_EN: 1
; COMPUTE_PGM_RSRC2:TGID_Y_EN: 0
; COMPUTE_PGM_RSRC2:TGID_Z_EN: 0
; COMPUTE_PGM_RSRC2:TIDIG_COMP_CNT: 0
; COMPUTE_PGM_RSRC3_GFX90A:ACCUM_OFFSET: 0
; COMPUTE_PGM_RSRC3_GFX90A:TG_SPLIT: 0
	.section	.text._ZN7rocprim17ROCPRIM_400000_NS6detail17trampoline_kernelINS0_14default_configENS1_25transform_config_selectorImLb1EEEZNS1_14transform_implILb1ES3_S5_PmS7_NS0_8identityIvEEEE10hipError_tT2_T3_mT4_P12ihipStream_tbEUlT_E_NS1_11comp_targetILNS1_3genE8ELNS1_11target_archE1030ELNS1_3gpuE2ELNS1_3repE0EEENS1_30default_config_static_selectorELNS0_4arch9wavefront6targetE1EEEvT1_,"axG",@progbits,_ZN7rocprim17ROCPRIM_400000_NS6detail17trampoline_kernelINS0_14default_configENS1_25transform_config_selectorImLb1EEEZNS1_14transform_implILb1ES3_S5_PmS7_NS0_8identityIvEEEE10hipError_tT2_T3_mT4_P12ihipStream_tbEUlT_E_NS1_11comp_targetILNS1_3genE8ELNS1_11target_archE1030ELNS1_3gpuE2ELNS1_3repE0EEENS1_30default_config_static_selectorELNS0_4arch9wavefront6targetE1EEEvT1_,comdat
	.protected	_ZN7rocprim17ROCPRIM_400000_NS6detail17trampoline_kernelINS0_14default_configENS1_25transform_config_selectorImLb1EEEZNS1_14transform_implILb1ES3_S5_PmS7_NS0_8identityIvEEEE10hipError_tT2_T3_mT4_P12ihipStream_tbEUlT_E_NS1_11comp_targetILNS1_3genE8ELNS1_11target_archE1030ELNS1_3gpuE2ELNS1_3repE0EEENS1_30default_config_static_selectorELNS0_4arch9wavefront6targetE1EEEvT1_ ; -- Begin function _ZN7rocprim17ROCPRIM_400000_NS6detail17trampoline_kernelINS0_14default_configENS1_25transform_config_selectorImLb1EEEZNS1_14transform_implILb1ES3_S5_PmS7_NS0_8identityIvEEEE10hipError_tT2_T3_mT4_P12ihipStream_tbEUlT_E_NS1_11comp_targetILNS1_3genE8ELNS1_11target_archE1030ELNS1_3gpuE2ELNS1_3repE0EEENS1_30default_config_static_selectorELNS0_4arch9wavefront6targetE1EEEvT1_
	.globl	_ZN7rocprim17ROCPRIM_400000_NS6detail17trampoline_kernelINS0_14default_configENS1_25transform_config_selectorImLb1EEEZNS1_14transform_implILb1ES3_S5_PmS7_NS0_8identityIvEEEE10hipError_tT2_T3_mT4_P12ihipStream_tbEUlT_E_NS1_11comp_targetILNS1_3genE8ELNS1_11target_archE1030ELNS1_3gpuE2ELNS1_3repE0EEENS1_30default_config_static_selectorELNS0_4arch9wavefront6targetE1EEEvT1_
	.p2align	8
	.type	_ZN7rocprim17ROCPRIM_400000_NS6detail17trampoline_kernelINS0_14default_configENS1_25transform_config_selectorImLb1EEEZNS1_14transform_implILb1ES3_S5_PmS7_NS0_8identityIvEEEE10hipError_tT2_T3_mT4_P12ihipStream_tbEUlT_E_NS1_11comp_targetILNS1_3genE8ELNS1_11target_archE1030ELNS1_3gpuE2ELNS1_3repE0EEENS1_30default_config_static_selectorELNS0_4arch9wavefront6targetE1EEEvT1_,@function
_ZN7rocprim17ROCPRIM_400000_NS6detail17trampoline_kernelINS0_14default_configENS1_25transform_config_selectorImLb1EEEZNS1_14transform_implILb1ES3_S5_PmS7_NS0_8identityIvEEEE10hipError_tT2_T3_mT4_P12ihipStream_tbEUlT_E_NS1_11comp_targetILNS1_3genE8ELNS1_11target_archE1030ELNS1_3gpuE2ELNS1_3repE0EEENS1_30default_config_static_selectorELNS0_4arch9wavefront6targetE1EEEvT1_: ; @_ZN7rocprim17ROCPRIM_400000_NS6detail17trampoline_kernelINS0_14default_configENS1_25transform_config_selectorImLb1EEEZNS1_14transform_implILb1ES3_S5_PmS7_NS0_8identityIvEEEE10hipError_tT2_T3_mT4_P12ihipStream_tbEUlT_E_NS1_11comp_targetILNS1_3genE8ELNS1_11target_archE1030ELNS1_3gpuE2ELNS1_3repE0EEENS1_30default_config_static_selectorELNS0_4arch9wavefront6targetE1EEEvT1_
; %bb.0:
	.section	.rodata,"a",@progbits
	.p2align	6, 0x0
	.amdhsa_kernel _ZN7rocprim17ROCPRIM_400000_NS6detail17trampoline_kernelINS0_14default_configENS1_25transform_config_selectorImLb1EEEZNS1_14transform_implILb1ES3_S5_PmS7_NS0_8identityIvEEEE10hipError_tT2_T3_mT4_P12ihipStream_tbEUlT_E_NS1_11comp_targetILNS1_3genE8ELNS1_11target_archE1030ELNS1_3gpuE2ELNS1_3repE0EEENS1_30default_config_static_selectorELNS0_4arch9wavefront6targetE1EEEvT1_
		.amdhsa_group_segment_fixed_size 0
		.amdhsa_private_segment_fixed_size 0
		.amdhsa_kernarg_size 40
		.amdhsa_user_sgpr_count 2
		.amdhsa_user_sgpr_dispatch_ptr 0
		.amdhsa_user_sgpr_queue_ptr 0
		.amdhsa_user_sgpr_kernarg_segment_ptr 1
		.amdhsa_user_sgpr_dispatch_id 0
		.amdhsa_user_sgpr_kernarg_preload_length 0
		.amdhsa_user_sgpr_kernarg_preload_offset 0
		.amdhsa_user_sgpr_private_segment_size 0
		.amdhsa_uses_dynamic_stack 0
		.amdhsa_enable_private_segment 0
		.amdhsa_system_sgpr_workgroup_id_x 1
		.amdhsa_system_sgpr_workgroup_id_y 0
		.amdhsa_system_sgpr_workgroup_id_z 0
		.amdhsa_system_sgpr_workgroup_info 0
		.amdhsa_system_vgpr_workitem_id 0
		.amdhsa_next_free_vgpr 1
		.amdhsa_next_free_sgpr 0
		.amdhsa_accum_offset 4
		.amdhsa_reserve_vcc 0
		.amdhsa_float_round_mode_32 0
		.amdhsa_float_round_mode_16_64 0
		.amdhsa_float_denorm_mode_32 3
		.amdhsa_float_denorm_mode_16_64 3
		.amdhsa_dx10_clamp 1
		.amdhsa_ieee_mode 1
		.amdhsa_fp16_overflow 0
		.amdhsa_tg_split 0
		.amdhsa_exception_fp_ieee_invalid_op 0
		.amdhsa_exception_fp_denorm_src 0
		.amdhsa_exception_fp_ieee_div_zero 0
		.amdhsa_exception_fp_ieee_overflow 0
		.amdhsa_exception_fp_ieee_underflow 0
		.amdhsa_exception_fp_ieee_inexact 0
		.amdhsa_exception_int_div_zero 0
	.end_amdhsa_kernel
	.section	.text._ZN7rocprim17ROCPRIM_400000_NS6detail17trampoline_kernelINS0_14default_configENS1_25transform_config_selectorImLb1EEEZNS1_14transform_implILb1ES3_S5_PmS7_NS0_8identityIvEEEE10hipError_tT2_T3_mT4_P12ihipStream_tbEUlT_E_NS1_11comp_targetILNS1_3genE8ELNS1_11target_archE1030ELNS1_3gpuE2ELNS1_3repE0EEENS1_30default_config_static_selectorELNS0_4arch9wavefront6targetE1EEEvT1_,"axG",@progbits,_ZN7rocprim17ROCPRIM_400000_NS6detail17trampoline_kernelINS0_14default_configENS1_25transform_config_selectorImLb1EEEZNS1_14transform_implILb1ES3_S5_PmS7_NS0_8identityIvEEEE10hipError_tT2_T3_mT4_P12ihipStream_tbEUlT_E_NS1_11comp_targetILNS1_3genE8ELNS1_11target_archE1030ELNS1_3gpuE2ELNS1_3repE0EEENS1_30default_config_static_selectorELNS0_4arch9wavefront6targetE1EEEvT1_,comdat
.Lfunc_end109:
	.size	_ZN7rocprim17ROCPRIM_400000_NS6detail17trampoline_kernelINS0_14default_configENS1_25transform_config_selectorImLb1EEEZNS1_14transform_implILb1ES3_S5_PmS7_NS0_8identityIvEEEE10hipError_tT2_T3_mT4_P12ihipStream_tbEUlT_E_NS1_11comp_targetILNS1_3genE8ELNS1_11target_archE1030ELNS1_3gpuE2ELNS1_3repE0EEENS1_30default_config_static_selectorELNS0_4arch9wavefront6targetE1EEEvT1_, .Lfunc_end109-_ZN7rocprim17ROCPRIM_400000_NS6detail17trampoline_kernelINS0_14default_configENS1_25transform_config_selectorImLb1EEEZNS1_14transform_implILb1ES3_S5_PmS7_NS0_8identityIvEEEE10hipError_tT2_T3_mT4_P12ihipStream_tbEUlT_E_NS1_11comp_targetILNS1_3genE8ELNS1_11target_archE1030ELNS1_3gpuE2ELNS1_3repE0EEENS1_30default_config_static_selectorELNS0_4arch9wavefront6targetE1EEEvT1_
                                        ; -- End function
	.section	.AMDGPU.csdata,"",@progbits
; Kernel info:
; codeLenInByte = 0
; NumSgprs: 6
; NumVgprs: 0
; NumAgprs: 0
; TotalNumVgprs: 0
; ScratchSize: 0
; MemoryBound: 0
; FloatMode: 240
; IeeeMode: 1
; LDSByteSize: 0 bytes/workgroup (compile time only)
; SGPRBlocks: 0
; VGPRBlocks: 0
; NumSGPRsForWavesPerEU: 6
; NumVGPRsForWavesPerEU: 1
; AccumOffset: 4
; Occupancy: 8
; WaveLimiterHint : 0
; COMPUTE_PGM_RSRC2:SCRATCH_EN: 0
; COMPUTE_PGM_RSRC2:USER_SGPR: 2
; COMPUTE_PGM_RSRC2:TRAP_HANDLER: 0
; COMPUTE_PGM_RSRC2:TGID_X_EN: 1
; COMPUTE_PGM_RSRC2:TGID_Y_EN: 0
; COMPUTE_PGM_RSRC2:TGID_Z_EN: 0
; COMPUTE_PGM_RSRC2:TIDIG_COMP_CNT: 0
; COMPUTE_PGM_RSRC3_GFX90A:ACCUM_OFFSET: 0
; COMPUTE_PGM_RSRC3_GFX90A:TG_SPLIT: 0
	.section	.text._ZN7rocprim17ROCPRIM_400000_NS6detail31init_lookback_scan_state_kernelINS1_19lookback_scan_stateIjLb1ELb1EEENS1_16block_id_wrapperIjLb1EEEEEvT_jT0_jPNS7_10value_typeE,"axG",@progbits,_ZN7rocprim17ROCPRIM_400000_NS6detail31init_lookback_scan_state_kernelINS1_19lookback_scan_stateIjLb1ELb1EEENS1_16block_id_wrapperIjLb1EEEEEvT_jT0_jPNS7_10value_typeE,comdat
	.protected	_ZN7rocprim17ROCPRIM_400000_NS6detail31init_lookback_scan_state_kernelINS1_19lookback_scan_stateIjLb1ELb1EEENS1_16block_id_wrapperIjLb1EEEEEvT_jT0_jPNS7_10value_typeE ; -- Begin function _ZN7rocprim17ROCPRIM_400000_NS6detail31init_lookback_scan_state_kernelINS1_19lookback_scan_stateIjLb1ELb1EEENS1_16block_id_wrapperIjLb1EEEEEvT_jT0_jPNS7_10value_typeE
	.globl	_ZN7rocprim17ROCPRIM_400000_NS6detail31init_lookback_scan_state_kernelINS1_19lookback_scan_stateIjLb1ELb1EEENS1_16block_id_wrapperIjLb1EEEEEvT_jT0_jPNS7_10value_typeE
	.p2align	8
	.type	_ZN7rocprim17ROCPRIM_400000_NS6detail31init_lookback_scan_state_kernelINS1_19lookback_scan_stateIjLb1ELb1EEENS1_16block_id_wrapperIjLb1EEEEEvT_jT0_jPNS7_10value_typeE,@function
_ZN7rocprim17ROCPRIM_400000_NS6detail31init_lookback_scan_state_kernelINS1_19lookback_scan_stateIjLb1ELb1EEENS1_16block_id_wrapperIjLb1EEEEEvT_jT0_jPNS7_10value_typeE: ; @_ZN7rocprim17ROCPRIM_400000_NS6detail31init_lookback_scan_state_kernelINS1_19lookback_scan_stateIjLb1ELb1EEENS1_16block_id_wrapperIjLb1EEEEEvT_jT0_jPNS7_10value_typeE
; %bb.0:
	s_load_dword s3, s[0:1], 0x34
	s_load_dwordx2 s[6:7], s[0:1], 0x20
	s_load_dwordx2 s[4:5], s[0:1], 0x0
	s_load_dword s10, s[0:1], 0x8
	s_waitcnt lgkmcnt(0)
	s_and_b32 s3, s3, 0xffff
	s_mul_i32 s2, s2, s3
	s_cmp_eq_u64 s[6:7], 0
	v_add_u32_e32 v0, s2, v0
	s_cbranch_scc1 .LBB110_9
; %bb.1:
	s_load_dword s8, s[0:1], 0x18
	s_mov_b32 s9, 0
	s_waitcnt lgkmcnt(0)
	s_cmp_lt_u32 s8, s10
	s_cselect_b32 s2, s8, 0
	v_cmp_eq_u32_e32 vcc, s2, v0
	s_and_saveexec_b64 s[2:3], vcc
	s_cbranch_execz .LBB110_8
; %bb.2:
	s_add_i32 s8, s8, 64
	s_lshl_b64 s[8:9], s[8:9], 3
	s_add_u32 s8, s4, s8
	s_addc_u32 s9, s5, s9
	v_mov_b32_e32 v2, 0
	global_load_dwordx2 v[4:5], v2, s[8:9] sc1
	s_waitcnt vmcnt(0)
	v_and_b32_e32 v3, 0xff, v5
	v_cmp_ne_u64_e32 vcc, 0, v[2:3]
	s_cbranch_vccnz .LBB110_7
; %bb.3:
	s_mov_b32 s11, 1
.LBB110_4:                              ; =>This Loop Header: Depth=1
                                        ;     Child Loop BB110_5 Depth 2
	s_max_u32 s12, s11, 1
.LBB110_5:                              ;   Parent Loop BB110_4 Depth=1
                                        ; =>  This Inner Loop Header: Depth=2
	s_add_i32 s12, s12, -1
	s_cmp_eq_u32 s12, 0
	s_sleep 1
	s_cbranch_scc0 .LBB110_5
; %bb.6:                                ;   in Loop: Header=BB110_4 Depth=1
	global_load_dwordx2 v[4:5], v2, s[8:9] sc1
	s_cmp_lt_u32 s11, 32
	s_cselect_b64 s[12:13], -1, 0
	s_cmp_lg_u64 s[12:13], 0
	s_addc_u32 s11, s11, 0
	s_waitcnt vmcnt(0)
	v_and_b32_e32 v3, 0xff, v5
	v_cmp_ne_u64_e32 vcc, 0, v[2:3]
	s_cbranch_vccz .LBB110_4
.LBB110_7:
	v_mov_b32_e32 v1, 0
	global_store_dword v1, v4, s[6:7]
.LBB110_8:
	s_or_b64 exec, exec, s[2:3]
.LBB110_9:
	v_cmp_eq_u32_e32 vcc, 0, v0
	s_and_saveexec_b64 s[2:3], vcc
	s_cbranch_execnz .LBB110_13
; %bb.10:
	s_or_b64 exec, exec, s[2:3]
	v_cmp_gt_u32_e32 vcc, s10, v0
	s_and_saveexec_b64 s[0:1], vcc
	s_cbranch_execnz .LBB110_14
.LBB110_11:
	s_or_b64 exec, exec, s[0:1]
	v_cmp_gt_u32_e32 vcc, 64, v0
	s_and_saveexec_b64 s[0:1], vcc
	s_cbranch_execnz .LBB110_15
.LBB110_12:
	s_endpgm
.LBB110_13:
	s_load_dwordx2 s[0:1], s[0:1], 0x10
	v_mov_b32_e32 v1, 0
	s_waitcnt lgkmcnt(0)
	global_store_dword v1, v1, s[0:1]
	s_or_b64 exec, exec, s[2:3]
	v_cmp_gt_u32_e32 vcc, s10, v0
	s_and_saveexec_b64 s[0:1], vcc
	s_cbranch_execz .LBB110_11
.LBB110_14:
	v_add_u32_e32 v2, 64, v0
	v_mov_b32_e32 v3, 0
	v_lshl_add_u64 v[4:5], v[2:3], 3, s[4:5]
	v_mov_b32_e32 v2, v3
	global_store_dwordx2 v[4:5], v[2:3], off
	s_or_b64 exec, exec, s[0:1]
	v_cmp_gt_u32_e32 vcc, 64, v0
	s_and_saveexec_b64 s[0:1], vcc
	s_cbranch_execz .LBB110_12
.LBB110_15:
	v_mov_b32_e32 v1, 0
	v_lshl_add_u64 v[2:3], v[0:1], 3, s[4:5]
	v_mov_b32_e32 v5, 0xff
	v_mov_b32_e32 v4, v1
	global_store_dwordx2 v[2:3], v[4:5], off
	s_endpgm
	.section	.rodata,"a",@progbits
	.p2align	6, 0x0
	.amdhsa_kernel _ZN7rocprim17ROCPRIM_400000_NS6detail31init_lookback_scan_state_kernelINS1_19lookback_scan_stateIjLb1ELb1EEENS1_16block_id_wrapperIjLb1EEEEEvT_jT0_jPNS7_10value_typeE
		.amdhsa_group_segment_fixed_size 0
		.amdhsa_private_segment_fixed_size 0
		.amdhsa_kernarg_size 296
		.amdhsa_user_sgpr_count 2
		.amdhsa_user_sgpr_dispatch_ptr 0
		.amdhsa_user_sgpr_queue_ptr 0
		.amdhsa_user_sgpr_kernarg_segment_ptr 1
		.amdhsa_user_sgpr_dispatch_id 0
		.amdhsa_user_sgpr_kernarg_preload_length 0
		.amdhsa_user_sgpr_kernarg_preload_offset 0
		.amdhsa_user_sgpr_private_segment_size 0
		.amdhsa_uses_dynamic_stack 0
		.amdhsa_enable_private_segment 0
		.amdhsa_system_sgpr_workgroup_id_x 1
		.amdhsa_system_sgpr_workgroup_id_y 0
		.amdhsa_system_sgpr_workgroup_id_z 0
		.amdhsa_system_sgpr_workgroup_info 0
		.amdhsa_system_vgpr_workitem_id 0
		.amdhsa_next_free_vgpr 6
		.amdhsa_next_free_sgpr 14
		.amdhsa_accum_offset 8
		.amdhsa_reserve_vcc 1
		.amdhsa_float_round_mode_32 0
		.amdhsa_float_round_mode_16_64 0
		.amdhsa_float_denorm_mode_32 3
		.amdhsa_float_denorm_mode_16_64 3
		.amdhsa_dx10_clamp 1
		.amdhsa_ieee_mode 1
		.amdhsa_fp16_overflow 0
		.amdhsa_tg_split 0
		.amdhsa_exception_fp_ieee_invalid_op 0
		.amdhsa_exception_fp_denorm_src 0
		.amdhsa_exception_fp_ieee_div_zero 0
		.amdhsa_exception_fp_ieee_overflow 0
		.amdhsa_exception_fp_ieee_underflow 0
		.amdhsa_exception_fp_ieee_inexact 0
		.amdhsa_exception_int_div_zero 0
	.end_amdhsa_kernel
	.section	.text._ZN7rocprim17ROCPRIM_400000_NS6detail31init_lookback_scan_state_kernelINS1_19lookback_scan_stateIjLb1ELb1EEENS1_16block_id_wrapperIjLb1EEEEEvT_jT0_jPNS7_10value_typeE,"axG",@progbits,_ZN7rocprim17ROCPRIM_400000_NS6detail31init_lookback_scan_state_kernelINS1_19lookback_scan_stateIjLb1ELb1EEENS1_16block_id_wrapperIjLb1EEEEEvT_jT0_jPNS7_10value_typeE,comdat
.Lfunc_end110:
	.size	_ZN7rocprim17ROCPRIM_400000_NS6detail31init_lookback_scan_state_kernelINS1_19lookback_scan_stateIjLb1ELb1EEENS1_16block_id_wrapperIjLb1EEEEEvT_jT0_jPNS7_10value_typeE, .Lfunc_end110-_ZN7rocprim17ROCPRIM_400000_NS6detail31init_lookback_scan_state_kernelINS1_19lookback_scan_stateIjLb1ELb1EEENS1_16block_id_wrapperIjLb1EEEEEvT_jT0_jPNS7_10value_typeE
                                        ; -- End function
	.section	.AMDGPU.csdata,"",@progbits
; Kernel info:
; codeLenInByte = 396
; NumSgprs: 20
; NumVgprs: 6
; NumAgprs: 0
; TotalNumVgprs: 6
; ScratchSize: 0
; MemoryBound: 0
; FloatMode: 240
; IeeeMode: 1
; LDSByteSize: 0 bytes/workgroup (compile time only)
; SGPRBlocks: 2
; VGPRBlocks: 0
; NumSGPRsForWavesPerEU: 20
; NumVGPRsForWavesPerEU: 6
; AccumOffset: 8
; Occupancy: 8
; WaveLimiterHint : 0
; COMPUTE_PGM_RSRC2:SCRATCH_EN: 0
; COMPUTE_PGM_RSRC2:USER_SGPR: 2
; COMPUTE_PGM_RSRC2:TRAP_HANDLER: 0
; COMPUTE_PGM_RSRC2:TGID_X_EN: 1
; COMPUTE_PGM_RSRC2:TGID_Y_EN: 0
; COMPUTE_PGM_RSRC2:TGID_Z_EN: 0
; COMPUTE_PGM_RSRC2:TIDIG_COMP_CNT: 0
; COMPUTE_PGM_RSRC3_GFX90A:ACCUM_OFFSET: 1
; COMPUTE_PGM_RSRC3_GFX90A:TG_SPLIT: 0
	.section	.text._ZN7rocprim17ROCPRIM_400000_NS6detail17trampoline_kernelINS0_14default_configENS1_25partition_config_selectorILNS1_17partition_subalgoE8EN6thrust23THRUST_200600_302600_NS5tupleIffNS7_9null_typeES9_S9_S9_S9_S9_S9_S9_EENS0_10empty_typeEbEEZZNS1_14partition_implILS5_8ELb0ES3_jNS7_6detail15normal_iteratorINS7_10device_ptrISA_EEEEPSB_PKSB_NS0_5tupleIJSI_SB_EEENSM_IJSJ_SJ_EEENS0_18inequality_wrapperINS7_8equal_toISA_EEEEPmJSB_EEE10hipError_tPvRmT3_T4_T5_T6_T7_T9_mT8_P12ihipStream_tbDpT10_ENKUlT_T0_E_clISt17integral_constantIbLb1EES1D_EEDaS18_S19_EUlS18_E_NS1_11comp_targetILNS1_3genE0ELNS1_11target_archE4294967295ELNS1_3gpuE0ELNS1_3repE0EEENS1_30default_config_static_selectorELNS0_4arch9wavefront6targetE1EEEvT1_,"axG",@progbits,_ZN7rocprim17ROCPRIM_400000_NS6detail17trampoline_kernelINS0_14default_configENS1_25partition_config_selectorILNS1_17partition_subalgoE8EN6thrust23THRUST_200600_302600_NS5tupleIffNS7_9null_typeES9_S9_S9_S9_S9_S9_S9_EENS0_10empty_typeEbEEZZNS1_14partition_implILS5_8ELb0ES3_jNS7_6detail15normal_iteratorINS7_10device_ptrISA_EEEEPSB_PKSB_NS0_5tupleIJSI_SB_EEENSM_IJSJ_SJ_EEENS0_18inequality_wrapperINS7_8equal_toISA_EEEEPmJSB_EEE10hipError_tPvRmT3_T4_T5_T6_T7_T9_mT8_P12ihipStream_tbDpT10_ENKUlT_T0_E_clISt17integral_constantIbLb1EES1D_EEDaS18_S19_EUlS18_E_NS1_11comp_targetILNS1_3genE0ELNS1_11target_archE4294967295ELNS1_3gpuE0ELNS1_3repE0EEENS1_30default_config_static_selectorELNS0_4arch9wavefront6targetE1EEEvT1_,comdat
	.protected	_ZN7rocprim17ROCPRIM_400000_NS6detail17trampoline_kernelINS0_14default_configENS1_25partition_config_selectorILNS1_17partition_subalgoE8EN6thrust23THRUST_200600_302600_NS5tupleIffNS7_9null_typeES9_S9_S9_S9_S9_S9_S9_EENS0_10empty_typeEbEEZZNS1_14partition_implILS5_8ELb0ES3_jNS7_6detail15normal_iteratorINS7_10device_ptrISA_EEEEPSB_PKSB_NS0_5tupleIJSI_SB_EEENSM_IJSJ_SJ_EEENS0_18inequality_wrapperINS7_8equal_toISA_EEEEPmJSB_EEE10hipError_tPvRmT3_T4_T5_T6_T7_T9_mT8_P12ihipStream_tbDpT10_ENKUlT_T0_E_clISt17integral_constantIbLb1EES1D_EEDaS18_S19_EUlS18_E_NS1_11comp_targetILNS1_3genE0ELNS1_11target_archE4294967295ELNS1_3gpuE0ELNS1_3repE0EEENS1_30default_config_static_selectorELNS0_4arch9wavefront6targetE1EEEvT1_ ; -- Begin function _ZN7rocprim17ROCPRIM_400000_NS6detail17trampoline_kernelINS0_14default_configENS1_25partition_config_selectorILNS1_17partition_subalgoE8EN6thrust23THRUST_200600_302600_NS5tupleIffNS7_9null_typeES9_S9_S9_S9_S9_S9_S9_EENS0_10empty_typeEbEEZZNS1_14partition_implILS5_8ELb0ES3_jNS7_6detail15normal_iteratorINS7_10device_ptrISA_EEEEPSB_PKSB_NS0_5tupleIJSI_SB_EEENSM_IJSJ_SJ_EEENS0_18inequality_wrapperINS7_8equal_toISA_EEEEPmJSB_EEE10hipError_tPvRmT3_T4_T5_T6_T7_T9_mT8_P12ihipStream_tbDpT10_ENKUlT_T0_E_clISt17integral_constantIbLb1EES1D_EEDaS18_S19_EUlS18_E_NS1_11comp_targetILNS1_3genE0ELNS1_11target_archE4294967295ELNS1_3gpuE0ELNS1_3repE0EEENS1_30default_config_static_selectorELNS0_4arch9wavefront6targetE1EEEvT1_
	.globl	_ZN7rocprim17ROCPRIM_400000_NS6detail17trampoline_kernelINS0_14default_configENS1_25partition_config_selectorILNS1_17partition_subalgoE8EN6thrust23THRUST_200600_302600_NS5tupleIffNS7_9null_typeES9_S9_S9_S9_S9_S9_S9_EENS0_10empty_typeEbEEZZNS1_14partition_implILS5_8ELb0ES3_jNS7_6detail15normal_iteratorINS7_10device_ptrISA_EEEEPSB_PKSB_NS0_5tupleIJSI_SB_EEENSM_IJSJ_SJ_EEENS0_18inequality_wrapperINS7_8equal_toISA_EEEEPmJSB_EEE10hipError_tPvRmT3_T4_T5_T6_T7_T9_mT8_P12ihipStream_tbDpT10_ENKUlT_T0_E_clISt17integral_constantIbLb1EES1D_EEDaS18_S19_EUlS18_E_NS1_11comp_targetILNS1_3genE0ELNS1_11target_archE4294967295ELNS1_3gpuE0ELNS1_3repE0EEENS1_30default_config_static_selectorELNS0_4arch9wavefront6targetE1EEEvT1_
	.p2align	8
	.type	_ZN7rocprim17ROCPRIM_400000_NS6detail17trampoline_kernelINS0_14default_configENS1_25partition_config_selectorILNS1_17partition_subalgoE8EN6thrust23THRUST_200600_302600_NS5tupleIffNS7_9null_typeES9_S9_S9_S9_S9_S9_S9_EENS0_10empty_typeEbEEZZNS1_14partition_implILS5_8ELb0ES3_jNS7_6detail15normal_iteratorINS7_10device_ptrISA_EEEEPSB_PKSB_NS0_5tupleIJSI_SB_EEENSM_IJSJ_SJ_EEENS0_18inequality_wrapperINS7_8equal_toISA_EEEEPmJSB_EEE10hipError_tPvRmT3_T4_T5_T6_T7_T9_mT8_P12ihipStream_tbDpT10_ENKUlT_T0_E_clISt17integral_constantIbLb1EES1D_EEDaS18_S19_EUlS18_E_NS1_11comp_targetILNS1_3genE0ELNS1_11target_archE4294967295ELNS1_3gpuE0ELNS1_3repE0EEENS1_30default_config_static_selectorELNS0_4arch9wavefront6targetE1EEEvT1_,@function
_ZN7rocprim17ROCPRIM_400000_NS6detail17trampoline_kernelINS0_14default_configENS1_25partition_config_selectorILNS1_17partition_subalgoE8EN6thrust23THRUST_200600_302600_NS5tupleIffNS7_9null_typeES9_S9_S9_S9_S9_S9_S9_EENS0_10empty_typeEbEEZZNS1_14partition_implILS5_8ELb0ES3_jNS7_6detail15normal_iteratorINS7_10device_ptrISA_EEEEPSB_PKSB_NS0_5tupleIJSI_SB_EEENSM_IJSJ_SJ_EEENS0_18inequality_wrapperINS7_8equal_toISA_EEEEPmJSB_EEE10hipError_tPvRmT3_T4_T5_T6_T7_T9_mT8_P12ihipStream_tbDpT10_ENKUlT_T0_E_clISt17integral_constantIbLb1EES1D_EEDaS18_S19_EUlS18_E_NS1_11comp_targetILNS1_3genE0ELNS1_11target_archE4294967295ELNS1_3gpuE0ELNS1_3repE0EEENS1_30default_config_static_selectorELNS0_4arch9wavefront6targetE1EEEvT1_: ; @_ZN7rocprim17ROCPRIM_400000_NS6detail17trampoline_kernelINS0_14default_configENS1_25partition_config_selectorILNS1_17partition_subalgoE8EN6thrust23THRUST_200600_302600_NS5tupleIffNS7_9null_typeES9_S9_S9_S9_S9_S9_S9_EENS0_10empty_typeEbEEZZNS1_14partition_implILS5_8ELb0ES3_jNS7_6detail15normal_iteratorINS7_10device_ptrISA_EEEEPSB_PKSB_NS0_5tupleIJSI_SB_EEENSM_IJSJ_SJ_EEENS0_18inequality_wrapperINS7_8equal_toISA_EEEEPmJSB_EEE10hipError_tPvRmT3_T4_T5_T6_T7_T9_mT8_P12ihipStream_tbDpT10_ENKUlT_T0_E_clISt17integral_constantIbLb1EES1D_EEDaS18_S19_EUlS18_E_NS1_11comp_targetILNS1_3genE0ELNS1_11target_archE4294967295ELNS1_3gpuE0ELNS1_3repE0EEENS1_30default_config_static_selectorELNS0_4arch9wavefront6targetE1EEEvT1_
; %bb.0:
	.section	.rodata,"a",@progbits
	.p2align	6, 0x0
	.amdhsa_kernel _ZN7rocprim17ROCPRIM_400000_NS6detail17trampoline_kernelINS0_14default_configENS1_25partition_config_selectorILNS1_17partition_subalgoE8EN6thrust23THRUST_200600_302600_NS5tupleIffNS7_9null_typeES9_S9_S9_S9_S9_S9_S9_EENS0_10empty_typeEbEEZZNS1_14partition_implILS5_8ELb0ES3_jNS7_6detail15normal_iteratorINS7_10device_ptrISA_EEEEPSB_PKSB_NS0_5tupleIJSI_SB_EEENSM_IJSJ_SJ_EEENS0_18inequality_wrapperINS7_8equal_toISA_EEEEPmJSB_EEE10hipError_tPvRmT3_T4_T5_T6_T7_T9_mT8_P12ihipStream_tbDpT10_ENKUlT_T0_E_clISt17integral_constantIbLb1EES1D_EEDaS18_S19_EUlS18_E_NS1_11comp_targetILNS1_3genE0ELNS1_11target_archE4294967295ELNS1_3gpuE0ELNS1_3repE0EEENS1_30default_config_static_selectorELNS0_4arch9wavefront6targetE1EEEvT1_
		.amdhsa_group_segment_fixed_size 0
		.amdhsa_private_segment_fixed_size 0
		.amdhsa_kernarg_size 128
		.amdhsa_user_sgpr_count 2
		.amdhsa_user_sgpr_dispatch_ptr 0
		.amdhsa_user_sgpr_queue_ptr 0
		.amdhsa_user_sgpr_kernarg_segment_ptr 1
		.amdhsa_user_sgpr_dispatch_id 0
		.amdhsa_user_sgpr_kernarg_preload_length 0
		.amdhsa_user_sgpr_kernarg_preload_offset 0
		.amdhsa_user_sgpr_private_segment_size 0
		.amdhsa_uses_dynamic_stack 0
		.amdhsa_enable_private_segment 0
		.amdhsa_system_sgpr_workgroup_id_x 1
		.amdhsa_system_sgpr_workgroup_id_y 0
		.amdhsa_system_sgpr_workgroup_id_z 0
		.amdhsa_system_sgpr_workgroup_info 0
		.amdhsa_system_vgpr_workitem_id 0
		.amdhsa_next_free_vgpr 1
		.amdhsa_next_free_sgpr 0
		.amdhsa_accum_offset 4
		.amdhsa_reserve_vcc 0
		.amdhsa_float_round_mode_32 0
		.amdhsa_float_round_mode_16_64 0
		.amdhsa_float_denorm_mode_32 3
		.amdhsa_float_denorm_mode_16_64 3
		.amdhsa_dx10_clamp 1
		.amdhsa_ieee_mode 1
		.amdhsa_fp16_overflow 0
		.amdhsa_tg_split 0
		.amdhsa_exception_fp_ieee_invalid_op 0
		.amdhsa_exception_fp_denorm_src 0
		.amdhsa_exception_fp_ieee_div_zero 0
		.amdhsa_exception_fp_ieee_overflow 0
		.amdhsa_exception_fp_ieee_underflow 0
		.amdhsa_exception_fp_ieee_inexact 0
		.amdhsa_exception_int_div_zero 0
	.end_amdhsa_kernel
	.section	.text._ZN7rocprim17ROCPRIM_400000_NS6detail17trampoline_kernelINS0_14default_configENS1_25partition_config_selectorILNS1_17partition_subalgoE8EN6thrust23THRUST_200600_302600_NS5tupleIffNS7_9null_typeES9_S9_S9_S9_S9_S9_S9_EENS0_10empty_typeEbEEZZNS1_14partition_implILS5_8ELb0ES3_jNS7_6detail15normal_iteratorINS7_10device_ptrISA_EEEEPSB_PKSB_NS0_5tupleIJSI_SB_EEENSM_IJSJ_SJ_EEENS0_18inequality_wrapperINS7_8equal_toISA_EEEEPmJSB_EEE10hipError_tPvRmT3_T4_T5_T6_T7_T9_mT8_P12ihipStream_tbDpT10_ENKUlT_T0_E_clISt17integral_constantIbLb1EES1D_EEDaS18_S19_EUlS18_E_NS1_11comp_targetILNS1_3genE0ELNS1_11target_archE4294967295ELNS1_3gpuE0ELNS1_3repE0EEENS1_30default_config_static_selectorELNS0_4arch9wavefront6targetE1EEEvT1_,"axG",@progbits,_ZN7rocprim17ROCPRIM_400000_NS6detail17trampoline_kernelINS0_14default_configENS1_25partition_config_selectorILNS1_17partition_subalgoE8EN6thrust23THRUST_200600_302600_NS5tupleIffNS7_9null_typeES9_S9_S9_S9_S9_S9_S9_EENS0_10empty_typeEbEEZZNS1_14partition_implILS5_8ELb0ES3_jNS7_6detail15normal_iteratorINS7_10device_ptrISA_EEEEPSB_PKSB_NS0_5tupleIJSI_SB_EEENSM_IJSJ_SJ_EEENS0_18inequality_wrapperINS7_8equal_toISA_EEEEPmJSB_EEE10hipError_tPvRmT3_T4_T5_T6_T7_T9_mT8_P12ihipStream_tbDpT10_ENKUlT_T0_E_clISt17integral_constantIbLb1EES1D_EEDaS18_S19_EUlS18_E_NS1_11comp_targetILNS1_3genE0ELNS1_11target_archE4294967295ELNS1_3gpuE0ELNS1_3repE0EEENS1_30default_config_static_selectorELNS0_4arch9wavefront6targetE1EEEvT1_,comdat
.Lfunc_end111:
	.size	_ZN7rocprim17ROCPRIM_400000_NS6detail17trampoline_kernelINS0_14default_configENS1_25partition_config_selectorILNS1_17partition_subalgoE8EN6thrust23THRUST_200600_302600_NS5tupleIffNS7_9null_typeES9_S9_S9_S9_S9_S9_S9_EENS0_10empty_typeEbEEZZNS1_14partition_implILS5_8ELb0ES3_jNS7_6detail15normal_iteratorINS7_10device_ptrISA_EEEEPSB_PKSB_NS0_5tupleIJSI_SB_EEENSM_IJSJ_SJ_EEENS0_18inequality_wrapperINS7_8equal_toISA_EEEEPmJSB_EEE10hipError_tPvRmT3_T4_T5_T6_T7_T9_mT8_P12ihipStream_tbDpT10_ENKUlT_T0_E_clISt17integral_constantIbLb1EES1D_EEDaS18_S19_EUlS18_E_NS1_11comp_targetILNS1_3genE0ELNS1_11target_archE4294967295ELNS1_3gpuE0ELNS1_3repE0EEENS1_30default_config_static_selectorELNS0_4arch9wavefront6targetE1EEEvT1_, .Lfunc_end111-_ZN7rocprim17ROCPRIM_400000_NS6detail17trampoline_kernelINS0_14default_configENS1_25partition_config_selectorILNS1_17partition_subalgoE8EN6thrust23THRUST_200600_302600_NS5tupleIffNS7_9null_typeES9_S9_S9_S9_S9_S9_S9_EENS0_10empty_typeEbEEZZNS1_14partition_implILS5_8ELb0ES3_jNS7_6detail15normal_iteratorINS7_10device_ptrISA_EEEEPSB_PKSB_NS0_5tupleIJSI_SB_EEENSM_IJSJ_SJ_EEENS0_18inequality_wrapperINS7_8equal_toISA_EEEEPmJSB_EEE10hipError_tPvRmT3_T4_T5_T6_T7_T9_mT8_P12ihipStream_tbDpT10_ENKUlT_T0_E_clISt17integral_constantIbLb1EES1D_EEDaS18_S19_EUlS18_E_NS1_11comp_targetILNS1_3genE0ELNS1_11target_archE4294967295ELNS1_3gpuE0ELNS1_3repE0EEENS1_30default_config_static_selectorELNS0_4arch9wavefront6targetE1EEEvT1_
                                        ; -- End function
	.section	.AMDGPU.csdata,"",@progbits
; Kernel info:
; codeLenInByte = 0
; NumSgprs: 6
; NumVgprs: 0
; NumAgprs: 0
; TotalNumVgprs: 0
; ScratchSize: 0
; MemoryBound: 0
; FloatMode: 240
; IeeeMode: 1
; LDSByteSize: 0 bytes/workgroup (compile time only)
; SGPRBlocks: 0
; VGPRBlocks: 0
; NumSGPRsForWavesPerEU: 6
; NumVGPRsForWavesPerEU: 1
; AccumOffset: 4
; Occupancy: 8
; WaveLimiterHint : 0
; COMPUTE_PGM_RSRC2:SCRATCH_EN: 0
; COMPUTE_PGM_RSRC2:USER_SGPR: 2
; COMPUTE_PGM_RSRC2:TRAP_HANDLER: 0
; COMPUTE_PGM_RSRC2:TGID_X_EN: 1
; COMPUTE_PGM_RSRC2:TGID_Y_EN: 0
; COMPUTE_PGM_RSRC2:TGID_Z_EN: 0
; COMPUTE_PGM_RSRC2:TIDIG_COMP_CNT: 0
; COMPUTE_PGM_RSRC3_GFX90A:ACCUM_OFFSET: 0
; COMPUTE_PGM_RSRC3_GFX90A:TG_SPLIT: 0
	.section	.text._ZN7rocprim17ROCPRIM_400000_NS6detail17trampoline_kernelINS0_14default_configENS1_25partition_config_selectorILNS1_17partition_subalgoE8EN6thrust23THRUST_200600_302600_NS5tupleIffNS7_9null_typeES9_S9_S9_S9_S9_S9_S9_EENS0_10empty_typeEbEEZZNS1_14partition_implILS5_8ELb0ES3_jNS7_6detail15normal_iteratorINS7_10device_ptrISA_EEEEPSB_PKSB_NS0_5tupleIJSI_SB_EEENSM_IJSJ_SJ_EEENS0_18inequality_wrapperINS7_8equal_toISA_EEEEPmJSB_EEE10hipError_tPvRmT3_T4_T5_T6_T7_T9_mT8_P12ihipStream_tbDpT10_ENKUlT_T0_E_clISt17integral_constantIbLb1EES1D_EEDaS18_S19_EUlS18_E_NS1_11comp_targetILNS1_3genE5ELNS1_11target_archE942ELNS1_3gpuE9ELNS1_3repE0EEENS1_30default_config_static_selectorELNS0_4arch9wavefront6targetE1EEEvT1_,"axG",@progbits,_ZN7rocprim17ROCPRIM_400000_NS6detail17trampoline_kernelINS0_14default_configENS1_25partition_config_selectorILNS1_17partition_subalgoE8EN6thrust23THRUST_200600_302600_NS5tupleIffNS7_9null_typeES9_S9_S9_S9_S9_S9_S9_EENS0_10empty_typeEbEEZZNS1_14partition_implILS5_8ELb0ES3_jNS7_6detail15normal_iteratorINS7_10device_ptrISA_EEEEPSB_PKSB_NS0_5tupleIJSI_SB_EEENSM_IJSJ_SJ_EEENS0_18inequality_wrapperINS7_8equal_toISA_EEEEPmJSB_EEE10hipError_tPvRmT3_T4_T5_T6_T7_T9_mT8_P12ihipStream_tbDpT10_ENKUlT_T0_E_clISt17integral_constantIbLb1EES1D_EEDaS18_S19_EUlS18_E_NS1_11comp_targetILNS1_3genE5ELNS1_11target_archE942ELNS1_3gpuE9ELNS1_3repE0EEENS1_30default_config_static_selectorELNS0_4arch9wavefront6targetE1EEEvT1_,comdat
	.protected	_ZN7rocprim17ROCPRIM_400000_NS6detail17trampoline_kernelINS0_14default_configENS1_25partition_config_selectorILNS1_17partition_subalgoE8EN6thrust23THRUST_200600_302600_NS5tupleIffNS7_9null_typeES9_S9_S9_S9_S9_S9_S9_EENS0_10empty_typeEbEEZZNS1_14partition_implILS5_8ELb0ES3_jNS7_6detail15normal_iteratorINS7_10device_ptrISA_EEEEPSB_PKSB_NS0_5tupleIJSI_SB_EEENSM_IJSJ_SJ_EEENS0_18inequality_wrapperINS7_8equal_toISA_EEEEPmJSB_EEE10hipError_tPvRmT3_T4_T5_T6_T7_T9_mT8_P12ihipStream_tbDpT10_ENKUlT_T0_E_clISt17integral_constantIbLb1EES1D_EEDaS18_S19_EUlS18_E_NS1_11comp_targetILNS1_3genE5ELNS1_11target_archE942ELNS1_3gpuE9ELNS1_3repE0EEENS1_30default_config_static_selectorELNS0_4arch9wavefront6targetE1EEEvT1_ ; -- Begin function _ZN7rocprim17ROCPRIM_400000_NS6detail17trampoline_kernelINS0_14default_configENS1_25partition_config_selectorILNS1_17partition_subalgoE8EN6thrust23THRUST_200600_302600_NS5tupleIffNS7_9null_typeES9_S9_S9_S9_S9_S9_S9_EENS0_10empty_typeEbEEZZNS1_14partition_implILS5_8ELb0ES3_jNS7_6detail15normal_iteratorINS7_10device_ptrISA_EEEEPSB_PKSB_NS0_5tupleIJSI_SB_EEENSM_IJSJ_SJ_EEENS0_18inequality_wrapperINS7_8equal_toISA_EEEEPmJSB_EEE10hipError_tPvRmT3_T4_T5_T6_T7_T9_mT8_P12ihipStream_tbDpT10_ENKUlT_T0_E_clISt17integral_constantIbLb1EES1D_EEDaS18_S19_EUlS18_E_NS1_11comp_targetILNS1_3genE5ELNS1_11target_archE942ELNS1_3gpuE9ELNS1_3repE0EEENS1_30default_config_static_selectorELNS0_4arch9wavefront6targetE1EEEvT1_
	.globl	_ZN7rocprim17ROCPRIM_400000_NS6detail17trampoline_kernelINS0_14default_configENS1_25partition_config_selectorILNS1_17partition_subalgoE8EN6thrust23THRUST_200600_302600_NS5tupleIffNS7_9null_typeES9_S9_S9_S9_S9_S9_S9_EENS0_10empty_typeEbEEZZNS1_14partition_implILS5_8ELb0ES3_jNS7_6detail15normal_iteratorINS7_10device_ptrISA_EEEEPSB_PKSB_NS0_5tupleIJSI_SB_EEENSM_IJSJ_SJ_EEENS0_18inequality_wrapperINS7_8equal_toISA_EEEEPmJSB_EEE10hipError_tPvRmT3_T4_T5_T6_T7_T9_mT8_P12ihipStream_tbDpT10_ENKUlT_T0_E_clISt17integral_constantIbLb1EES1D_EEDaS18_S19_EUlS18_E_NS1_11comp_targetILNS1_3genE5ELNS1_11target_archE942ELNS1_3gpuE9ELNS1_3repE0EEENS1_30default_config_static_selectorELNS0_4arch9wavefront6targetE1EEEvT1_
	.p2align	8
	.type	_ZN7rocprim17ROCPRIM_400000_NS6detail17trampoline_kernelINS0_14default_configENS1_25partition_config_selectorILNS1_17partition_subalgoE8EN6thrust23THRUST_200600_302600_NS5tupleIffNS7_9null_typeES9_S9_S9_S9_S9_S9_S9_EENS0_10empty_typeEbEEZZNS1_14partition_implILS5_8ELb0ES3_jNS7_6detail15normal_iteratorINS7_10device_ptrISA_EEEEPSB_PKSB_NS0_5tupleIJSI_SB_EEENSM_IJSJ_SJ_EEENS0_18inequality_wrapperINS7_8equal_toISA_EEEEPmJSB_EEE10hipError_tPvRmT3_T4_T5_T6_T7_T9_mT8_P12ihipStream_tbDpT10_ENKUlT_T0_E_clISt17integral_constantIbLb1EES1D_EEDaS18_S19_EUlS18_E_NS1_11comp_targetILNS1_3genE5ELNS1_11target_archE942ELNS1_3gpuE9ELNS1_3repE0EEENS1_30default_config_static_selectorELNS0_4arch9wavefront6targetE1EEEvT1_,@function
_ZN7rocprim17ROCPRIM_400000_NS6detail17trampoline_kernelINS0_14default_configENS1_25partition_config_selectorILNS1_17partition_subalgoE8EN6thrust23THRUST_200600_302600_NS5tupleIffNS7_9null_typeES9_S9_S9_S9_S9_S9_S9_EENS0_10empty_typeEbEEZZNS1_14partition_implILS5_8ELb0ES3_jNS7_6detail15normal_iteratorINS7_10device_ptrISA_EEEEPSB_PKSB_NS0_5tupleIJSI_SB_EEENSM_IJSJ_SJ_EEENS0_18inequality_wrapperINS7_8equal_toISA_EEEEPmJSB_EEE10hipError_tPvRmT3_T4_T5_T6_T7_T9_mT8_P12ihipStream_tbDpT10_ENKUlT_T0_E_clISt17integral_constantIbLb1EES1D_EEDaS18_S19_EUlS18_E_NS1_11comp_targetILNS1_3genE5ELNS1_11target_archE942ELNS1_3gpuE9ELNS1_3repE0EEENS1_30default_config_static_selectorELNS0_4arch9wavefront6targetE1EEEvT1_: ; @_ZN7rocprim17ROCPRIM_400000_NS6detail17trampoline_kernelINS0_14default_configENS1_25partition_config_selectorILNS1_17partition_subalgoE8EN6thrust23THRUST_200600_302600_NS5tupleIffNS7_9null_typeES9_S9_S9_S9_S9_S9_S9_EENS0_10empty_typeEbEEZZNS1_14partition_implILS5_8ELb0ES3_jNS7_6detail15normal_iteratorINS7_10device_ptrISA_EEEEPSB_PKSB_NS0_5tupleIJSI_SB_EEENSM_IJSJ_SJ_EEENS0_18inequality_wrapperINS7_8equal_toISA_EEEEPmJSB_EEE10hipError_tPvRmT3_T4_T5_T6_T7_T9_mT8_P12ihipStream_tbDpT10_ENKUlT_T0_E_clISt17integral_constantIbLb1EES1D_EEDaS18_S19_EUlS18_E_NS1_11comp_targetILNS1_3genE5ELNS1_11target_archE942ELNS1_3gpuE9ELNS1_3repE0EEENS1_30default_config_static_selectorELNS0_4arch9wavefront6targetE1EEEvT1_
; %bb.0:
	s_load_dwordx4 s[28:31], s[0:1], 0x40
	s_load_dwordx2 s[8:9], s[0:1], 0x50
	s_load_dwordx2 s[38:39], s[0:1], 0x60
	v_cmp_ne_u32_e64 s[2:3], 0, v0
	v_cmp_eq_u32_e64 s[18:19], 0, v0
	s_and_saveexec_b64 s[4:5], s[18:19]
	s_cbranch_execz .LBB112_4
; %bb.1:
	s_mov_b64 s[10:11], exec
	v_mbcnt_lo_u32_b32 v1, s10, 0
	v_mbcnt_hi_u32_b32 v1, s11, v1
	v_cmp_eq_u32_e32 vcc, 0, v1
                                        ; implicit-def: $vgpr2
	s_and_saveexec_b64 s[6:7], vcc
	s_cbranch_execz .LBB112_3
; %bb.2:
	s_load_dwordx2 s[12:13], s[0:1], 0x70
	s_bcnt1_i32_b64 s10, s[10:11]
	v_mov_b32_e32 v2, 0
	v_mov_b32_e32 v3, s10
	s_waitcnt lgkmcnt(0)
	global_atomic_add v2, v2, v3, s[12:13] sc0
.LBB112_3:
	s_or_b64 exec, exec, s[6:7]
	s_waitcnt vmcnt(0)
	v_readfirstlane_b32 s6, v2
	v_mov_b32_e32 v2, 0
	s_nop 0
	v_add_u32_e32 v1, s6, v1
	ds_write_b32 v2, v1
.LBB112_4:
	s_or_b64 exec, exec, s[4:5]
	v_mov_b32_e32 v3, 0
	s_load_dwordx4 s[4:7], s[0:1], 0x8
	s_load_dwordx2 s[34:35], s[0:1], 0x28
	s_load_dword s10, s[0:1], 0x68
	s_waitcnt lgkmcnt(0)
	s_barrier
	ds_read_b32 v1, v3
	s_waitcnt lgkmcnt(0)
	s_barrier
	global_load_dwordx2 v[14:15], v3, s[30:31]
	s_lshl_b64 s[0:1], s[6:7], 3
	s_add_u32 s4, s4, s0
	s_mul_i32 s0, s10, 0xe00
	s_addc_u32 s5, s5, s1
	s_add_i32 s1, s0, s6
	v_mov_b32_e32 v5, s9
	s_add_i32 s9, s10, -1
	s_sub_i32 s46, s8, s1
	s_add_u32 s0, s6, s0
	v_readfirstlane_b32 s33, v1
	s_addc_u32 s1, s7, 0
	v_mov_b32_e32 v4, s8
	s_cmp_eq_u32 s33, s9
	s_movk_i32 s11, 0xe00
	s_cselect_b64 s[30:31], -1, 0
	v_cmp_ge_u64_e32 vcc, s[0:1], v[4:5]
	v_mul_lo_u32 v2, v1, s11
	s_and_b64 s[40:41], vcc, s[30:31]
	s_xor_b64 s[36:37], s[40:41], -1
	v_lshlrev_b64 v[4:5], 3, v[2:3]
	s_mov_b64 s[0:1], -1
	v_lshl_add_u64 v[18:19], s[4:5], 0, v[4:5]
	s_and_b64 vcc, exec, s[36:37]
	s_cbranch_vccz .LBB112_6
; %bb.5:
	v_lshlrev_b32_e32 v2, 3, v0
	v_lshl_add_u64 v[4:5], v[18:19], 0, v[2:3]
	v_add_co_u32_e32 v6, vcc, 0x1000, v4
	s_mov_b64 s[0:1], 0
	s_nop 0
	v_addc_co_u32_e32 v7, vcc, 0, v5, vcc
	v_add_co_u32_e32 v8, vcc, 0x2000, v4
	s_nop 1
	v_addc_co_u32_e32 v9, vcc, 0, v5, vcc
	v_add_co_u32_e32 v10, vcc, 0x3000, v4
	s_nop 1
	v_addc_co_u32_e32 v11, vcc, 0, v5, vcc
	flat_load_dwordx2 v[12:13], v[4:5]
	flat_load_dwordx2 v[16:17], v[6:7]
	;; [unrolled: 1-line block ×4, first 2 shown]
	v_add_co_u32_e32 v6, vcc, 0x4000, v4
	s_nop 1
	v_addc_co_u32_e32 v7, vcc, 0, v5, vcc
	v_add_co_u32_e32 v8, vcc, 0x5000, v4
	s_nop 1
	v_addc_co_u32_e32 v9, vcc, 0, v5, vcc
	;; [unrolled: 3-line block ×3, first 2 shown]
	flat_load_dwordx2 v[10:11], v[6:7]
	flat_load_dwordx2 v[24:25], v[8:9]
	;; [unrolled: 1-line block ×3, first 2 shown]
	s_waitcnt vmcnt(0) lgkmcnt(0)
	ds_write2st64_b64 v2, v[12:13], v[16:17] offset1:8
	ds_write2st64_b64 v2, v[20:21], v[22:23] offset0:16 offset1:24
	ds_write2st64_b64 v2, v[10:11], v[24:25] offset0:32 offset1:40
	ds_write_b64 v2, v[26:27] offset:24576
	s_waitcnt lgkmcnt(0)
	s_barrier
.LBB112_6:
	s_andn2_b64 vcc, exec, s[0:1]
	s_addk_i32 s46, 0xe00
	s_cbranch_vccnz .LBB112_22
; %bb.7:
	v_cmp_gt_u32_e32 vcc, s46, v0
	v_mov_b32_e32 v2, 0
	v_mov_b32_e32 v4, 0
	v_mov_b32_e32 v5, 0
	s_and_saveexec_b64 s[0:1], vcc
	s_cbranch_execz .LBB112_9
; %bb.8:
	v_lshlrev_b32_e32 v4, 3, v0
	v_mov_b32_e32 v5, 0
	v_lshl_add_u64 v[4:5], v[18:19], 0, v[4:5]
	flat_load_dwordx2 v[4:5], v[4:5]
.LBB112_9:
	s_or_b64 exec, exec, s[0:1]
	v_or_b32_e32 v1, 0x200, v0
	v_cmp_gt_u32_e32 vcc, s46, v1
	v_mov_b32_e32 v3, 0
	s_and_saveexec_b64 s[0:1], vcc
	s_cbranch_execz .LBB112_11
; %bb.10:
	v_lshlrev_b32_e32 v2, 3, v1
	v_mov_b32_e32 v3, 0
	v_lshl_add_u64 v[2:3], v[18:19], 0, v[2:3]
	flat_load_dwordx2 v[2:3], v[2:3]
.LBB112_11:
	s_or_b64 exec, exec, s[0:1]
	v_or_b32_e32 v1, 0x400, v0
	v_cmp_gt_u32_e32 vcc, s46, v1
	v_mov_b32_e32 v6, 0
	v_mov_b32_e32 v8, 0
	v_mov_b32_e32 v9, 0
	s_and_saveexec_b64 s[0:1], vcc
	s_cbranch_execz .LBB112_13
; %bb.12:
	v_lshlrev_b32_e32 v8, 3, v1
	v_mov_b32_e32 v9, 0
	v_lshl_add_u64 v[8:9], v[18:19], 0, v[8:9]
	flat_load_dwordx2 v[8:9], v[8:9]
.LBB112_13:
	s_or_b64 exec, exec, s[0:1]
	v_or_b32_e32 v1, 0x600, v0
	v_cmp_gt_u32_e32 vcc, s46, v1
	v_mov_b32_e32 v7, 0
	s_and_saveexec_b64 s[0:1], vcc
	s_cbranch_execz .LBB112_15
; %bb.14:
	v_lshlrev_b32_e32 v6, 3, v1
	v_mov_b32_e32 v7, 0
	v_lshl_add_u64 v[6:7], v[18:19], 0, v[6:7]
	flat_load_dwordx2 v[6:7], v[6:7]
.LBB112_15:
	s_or_b64 exec, exec, s[0:1]
	v_or_b32_e32 v1, 0x800, v0
	;; [unrolled: 26-line block ×3, first 2 shown]
	v_cmp_gt_u32_e32 vcc, s46, v1
	v_mov_b32_e32 v16, 0
	v_mov_b32_e32 v17, 0
	s_and_saveexec_b64 s[0:1], vcc
	s_cbranch_execz .LBB112_21
; %bb.20:
	v_lshlrev_b32_e32 v16, 3, v1
	v_mov_b32_e32 v17, 0
	v_lshl_add_u64 v[16:17], v[18:19], 0, v[16:17]
	flat_load_dwordx2 v[16:17], v[16:17]
.LBB112_21:
	s_or_b64 exec, exec, s[0:1]
	v_lshlrev_b32_e32 v1, 3, v0
	s_waitcnt vmcnt(0) lgkmcnt(0)
	ds_write2st64_b64 v1, v[4:5], v[2:3] offset1:8
	ds_write2st64_b64 v1, v[8:9], v[6:7] offset0:16 offset1:24
	ds_write2st64_b64 v1, v[12:13], v[10:11] offset0:32 offset1:40
	ds_write_b64 v1, v[16:17] offset:24576
	s_waitcnt lgkmcnt(0)
	s_barrier
.LBB112_22:
	v_mul_u32_u24_e32 v22, 7, v0
	v_lshlrev_b32_e32 v1, 3, v22
	ds_read2_b64 v[10:13], v1 offset1:1
	ds_read2_b64 v[6:9], v1 offset0:2 offset1:3
	ds_read2_b64 v[2:5], v1 offset0:4 offset1:5
	ds_read_b64 v[16:17], v1 offset:48
	s_cmp_lg_u32 s33, 0
	s_cselect_b64 s[42:43], -1, 0
	s_cmp_lg_u64 s[6:7], 0
	s_cselect_b64 s[0:1], -1, 0
	s_or_b64 s[0:1], s[0:1], s[42:43]
	v_mad_u32_u24 v24, v0, 7, 1
	v_mad_u32_u24 v23, v0, 7, 2
	v_mad_u32_u24 v27, v0, 7, 3
	v_mad_u32_u24 v25, v0, 7, 4
	v_mad_u32_u24 v28, v0, 7, 5
	v_mad_u32_u24 v26, v0, 7, 6
	s_mov_b64 s[44:45], 0
	s_and_b64 vcc, exec, s[0:1]
	s_waitcnt lgkmcnt(0)
	s_barrier
	s_cbranch_vccz .LBB112_27
; %bb.23:
	v_add_co_u32_e32 v18, vcc, -8, v18
	v_lshlrev_b32_e32 v32, 3, v0
	s_nop 0
	v_addc_co_u32_e32 v19, vcc, -1, v19, vcc
	flat_load_dwordx2 v[18:19], v[18:19]
	s_and_b64 vcc, exec, s[36:37]
	ds_write_b64 v32, v[16:17]
	s_cbranch_vccz .LBB112_29
; %bb.24:
	s_waitcnt vmcnt(0) lgkmcnt(0)
	v_mov_b64_e32 v[20:21], v[18:19]
	s_barrier
	s_and_saveexec_b64 s[0:1], s[2:3]
	s_cbranch_execz .LBB112_26
; %bb.25:
	v_add_u32_e32 v20, -8, v32
	ds_read_b64 v[20:21], v20
.LBB112_26:
	s_or_b64 exec, exec, s[0:1]
	v_cmp_neq_f32_e32 vcc, v4, v16
	v_cmp_neq_f32_e64 s[0:1], v5, v17
	s_or_b64 s[0:1], vcc, s[0:1]
	v_cmp_neq_f32_e32 vcc, v2, v4
	v_cndmask_b32_e64 v31, 0, 1, s[0:1]
	v_cmp_neq_f32_e64 s[0:1], v3, v5
	s_or_b64 s[0:1], vcc, s[0:1]
	v_cmp_neq_f32_e32 vcc, v8, v2
	v_cndmask_b32_e64 v29, 0, 1, s[0:1]
	;; [unrolled: 4-line block ×5, first 2 shown]
	v_cmp_neq_f32_e64 s[0:1], v11, v13
	s_or_b64 s[0:1], vcc, s[0:1]
	s_waitcnt lgkmcnt(0)
	v_cmp_neq_f32_e32 vcc, v20, v10
	v_cndmask_b32_e64 v35, 0, 1, s[0:1]
	v_lshlrev_b16_e32 v20, 8, v33
	v_cmp_neq_f32_e64 s[0:1], v21, v11
	v_or_b32_sdwa v20, v34, v20 dst_sel:WORD_1 dst_unused:UNUSED_PAD src0_sel:DWORD src1_sel:DWORD
	v_lshlrev_b16_e32 v21, 8, v35
	s_or_b64 s[0:1], vcc, s[0:1]
	v_or_b32_e32 v20, v21, v20
	s_branch .LBB112_33
.LBB112_27:
                                        ; implicit-def: $sgpr0_sgpr1
                                        ; implicit-def: $vgpr31
                                        ; implicit-def: $vgpr29
                                        ; implicit-def: $vgpr30
                                        ; implicit-def: $vgpr20
	s_branch .LBB112_34
.LBB112_28:
                                        ; implicit-def: $vgpr18_vgpr19
	s_and_saveexec_b64 s[2:3], s[44:45]
	s_cbranch_execnz .LBB112_42
	s_branch .LBB112_43
.LBB112_29:
                                        ; implicit-def: $sgpr0_sgpr1
                                        ; implicit-def: $vgpr31
                                        ; implicit-def: $vgpr29
                                        ; implicit-def: $vgpr30
                                        ; implicit-def: $vgpr20
	s_cbranch_execz .LBB112_33
; %bb.30:
	s_waitcnt lgkmcnt(0)
	s_barrier
	s_and_saveexec_b64 s[0:1], s[2:3]
	s_cbranch_execz .LBB112_32
; %bb.31:
	s_waitcnt vmcnt(0)
	v_add_u32_e32 v18, -8, v32
	ds_read_b64 v[18:19], v18
.LBB112_32:
	s_or_b64 exec, exec, s[0:1]
	v_cmp_neq_f32_e64 s[0:1], v4, v16
	v_cmp_neq_f32_e64 s[4:5], v5, v17
	v_cmp_gt_u32_e32 vcc, s46, v26
	s_or_b64 s[0:1], s[0:1], s[4:5]
	s_and_b64 s[0:1], vcc, s[0:1]
	v_cndmask_b32_e64 v31, 0, 1, s[0:1]
	v_cmp_neq_f32_e64 s[0:1], v2, v4
	v_cmp_neq_f32_e64 s[4:5], v3, v5
	v_cmp_gt_u32_e32 vcc, s46, v28
	s_or_b64 s[0:1], s[0:1], s[4:5]
	s_and_b64 s[0:1], vcc, s[0:1]
	v_cndmask_b32_e64 v29, 0, 1, s[0:1]
	;; [unrolled: 6-line block ×6, first 2 shown]
	s_waitcnt vmcnt(0) lgkmcnt(0)
	v_cmp_neq_f32_e64 s[0:1], v18, v10
	v_cmp_neq_f32_e64 s[4:5], v19, v11
	v_lshlrev_b16_e32 v18, 8, v20
	v_cmp_gt_u32_e32 vcc, s46, v22
	s_or_b64 s[0:1], s[0:1], s[4:5]
	v_or_b32_sdwa v18, v21, v18 dst_sel:WORD_1 dst_unused:UNUSED_PAD src0_sel:DWORD src1_sel:DWORD
	v_lshlrev_b16_e32 v19, 8, v32
	s_and_b64 s[0:1], vcc, s[0:1]
	v_or_b32_e32 v20, v19, v18
.LBB112_33:
	s_mov_b64 s[44:45], -1
	s_cbranch_execnz .LBB112_28
.LBB112_34:
	s_movk_i32 s0, 0xffd0
	v_mad_i32_i24 v21, v0, s0, v1
	s_and_b64 vcc, exec, s[36:37]
	v_cmp_neq_f32_e64 s[0:1], v4, v16
	v_cmp_neq_f32_e64 s[4:5], v5, v17
	;; [unrolled: 1-line block ×12, first 2 shown]
	ds_write_b64 v21, v[16:17]
	s_cbranch_vccz .LBB112_38
; %bb.35:
	s_or_b64 s[6:7], s[6:7], s[16:17]
	v_cndmask_b32_e64 v29, 0, 1, s[6:7]
	s_or_b64 s[6:7], s[8:9], s[20:21]
	v_cndmask_b32_e64 v30, 0, 1, s[6:7]
	s_or_b64 s[6:7], s[10:11], s[22:23]
	s_waitcnt vmcnt(0) lgkmcnt(0)
	v_cndmask_b32_e64 v18, 0, 1, s[6:7]
	s_or_b64 s[6:7], s[12:13], s[24:25]
	v_cndmask_b32_e64 v20, 0, 1, s[6:7]
	s_or_b64 s[6:7], s[14:15], s[26:27]
	v_cndmask_b32_e64 v32, 0, 1, s[6:7]
	v_lshlrev_b16_e32 v19, 8, v29
	v_lshlrev_b16_e32 v18, 8, v18
	v_or_b32_e32 v19, v30, v19
	s_or_b64 s[0:1], s[0:1], s[4:5]
	v_or_b32_sdwa v18, v20, v18 dst_sel:WORD_1 dst_unused:UNUSED_PAD src0_sel:DWORD src1_sel:DWORD
	v_lshlrev_b16_e32 v20, 8, v32
	v_and_b32_e32 v19, 0xffff, v19
	v_cndmask_b32_e64 v31, 0, 1, s[0:1]
	v_or_b32_e32 v20, 1, v20
	v_lshl_or_b32 v19, v31, 16, v19
	v_or_b32_sdwa v18, v20, v18 dst_sel:DWORD dst_unused:UNUSED_PAD src0_sel:WORD_0 src1_sel:DWORD
	s_barrier
	s_waitcnt lgkmcnt(0)
                                        ; implicit-def: $sgpr0_sgpr1
                                        ; implicit-def: $vgpr20
	s_and_saveexec_b64 s[4:5], s[2:3]
	s_xor_b64 s[4:5], exec, s[4:5]
	s_cbranch_execz .LBB112_37
; %bb.36:
	v_add_u32_e32 v19, -8, v21
	ds_read_b64 v[32:33], v19
	s_mov_b32 s0, 0x3020104
	v_perm_b32 v20, v18, v18, s0
	s_or_b64 s[44:45], s[44:45], exec
                                        ; implicit-def: $vgpr18_vgpr19
	s_waitcnt lgkmcnt(0)
	v_cmp_neq_f32_e32 vcc, v32, v10
	v_cmp_neq_f32_e64 s[0:1], v33, v11
	s_or_b64 s[0:1], vcc, s[0:1]
	s_and_b64 s[0:1], s[0:1], exec
.LBB112_37:
	s_or_b64 exec, exec, s[4:5]
	s_branch .LBB112_41
.LBB112_38:
                                        ; implicit-def: $sgpr0_sgpr1
                                        ; implicit-def: $vgpr31
                                        ; implicit-def: $vgpr29
                                        ; implicit-def: $vgpr30
                                        ; implicit-def: $vgpr20
                                        ; implicit-def: $vgpr18_vgpr19
	s_cbranch_execz .LBB112_41
; %bb.39:
	v_cmp_neq_f32_e64 s[0:1], v4, v16
	v_cmp_neq_f32_e64 s[4:5], v5, v17
	s_or_b64 s[8:9], s[0:1], s[4:5]
	v_cmp_neq_f32_e64 s[4:5], v2, v4
	v_cmp_neq_f32_e64 s[6:7], v3, v5
	v_cmp_gt_u32_e64 s[0:1], s46, v28
	s_or_b64 s[4:5], s[4:5], s[6:7]
	s_and_b64 s[0:1], s[0:1], s[4:5]
	v_cmp_neq_f32_e64 s[4:5], v8, v2
	v_cmp_neq_f32_e64 s[6:7], v9, v3
	v_cndmask_b32_e64 v29, 0, 1, s[0:1]
	v_cmp_gt_u32_e64 s[0:1], s46, v25
	s_or_b64 s[4:5], s[4:5], s[6:7]
	s_and_b64 s[0:1], s[0:1], s[4:5]
	v_cmp_neq_f32_e64 s[4:5], v6, v8
	v_cmp_neq_f32_e64 s[6:7], v7, v9
	v_cndmask_b32_e64 v30, 0, 1, s[0:1]
	v_cmp_gt_u32_e64 s[0:1], s46, v27
	s_or_b64 s[4:5], s[4:5], s[6:7]
	s_and_b64 s[0:1], s[0:1], s[4:5]
	v_cmp_neq_f32_e64 s[4:5], v12, v6
	v_cmp_neq_f32_e64 s[6:7], v13, v7
	s_waitcnt vmcnt(0) lgkmcnt(0)
	v_cndmask_b32_e64 v18, 0, 1, s[0:1]
	v_cmp_gt_u32_e64 s[0:1], s46, v23
	s_or_b64 s[4:5], s[4:5], s[6:7]
	s_and_b64 s[0:1], s[0:1], s[4:5]
	v_cmp_neq_f32_e64 s[4:5], v10, v12
	v_cmp_neq_f32_e64 s[6:7], v11, v13
	v_cndmask_b32_e64 v20, 0, 1, s[0:1]
	v_cmp_gt_u32_e64 s[0:1], s46, v24
	s_or_b64 s[4:5], s[4:5], s[6:7]
	s_and_b64 s[0:1], s[0:1], s[4:5]
	v_cmp_gt_u32_e32 vcc, s46, v26
	v_cndmask_b32_e64 v32, 0, 1, s[0:1]
	v_lshlrev_b16_e32 v19, 8, v29
	v_lshlrev_b16_e32 v18, 8, v18
	v_or_b32_e32 v19, v30, v19
	s_and_b64 s[0:1], vcc, s[8:9]
	v_or_b32_sdwa v18, v20, v18 dst_sel:WORD_1 dst_unused:UNUSED_PAD src0_sel:DWORD src1_sel:DWORD
	v_lshlrev_b16_e32 v20, 8, v32
	v_and_b32_e32 v19, 0xffff, v19
	v_cndmask_b32_e64 v31, 0, 1, s[0:1]
	v_or_b32_e32 v20, 1, v20
	v_lshl_or_b32 v19, v31, 16, v19
	v_or_b32_sdwa v18, v20, v18 dst_sel:DWORD dst_unused:UNUSED_PAD src0_sel:WORD_0 src1_sel:DWORD
	s_barrier
	s_waitcnt lgkmcnt(0)
                                        ; implicit-def: $sgpr0_sgpr1
                                        ; implicit-def: $vgpr20
	s_and_saveexec_b64 s[4:5], s[2:3]
	s_cbranch_execz .LBB112_141
; %bb.40:
	v_add_u32_e32 v19, -8, v21
	ds_read_b64 v[32:33], v19
	s_mov_b32 s0, 0x3020104
	v_perm_b32 v20, v18, v18, s0
	v_cmp_gt_u32_e32 vcc, s46, v22
	s_or_b64 s[44:45], s[44:45], exec
	s_waitcnt lgkmcnt(0)
	v_cmp_neq_f32_e64 s[0:1], v32, v10
	v_cmp_neq_f32_e64 s[2:3], v33, v11
	s_or_b64 s[0:1], s[0:1], s[2:3]
	s_and_b64 s[0:1], vcc, s[0:1]
	s_and_b64 s[0:1], s[0:1], exec
                                        ; implicit-def: $vgpr18_vgpr19
	s_or_b64 exec, exec, s[4:5]
.LBB112_41:
	s_and_saveexec_b64 s[2:3], s[44:45]
	s_cbranch_execz .LBB112_43
.LBB112_42:
	s_waitcnt vmcnt(0) lgkmcnt(0)
	v_lshlrev_b16_e32 v19, 8, v29
	v_and_b32_e32 v21, 0xff, v31
	v_or_b32_sdwa v19, v30, v19 dst_sel:DWORD dst_unused:UNUSED_PAD src0_sel:BYTE_0 src1_sel:DWORD
	v_lshlrev_b32_e32 v21, 16, v21
	v_cndmask_b32_e64 v18, 0, 1, s[0:1]
	s_movk_i32 s0, 0xff
	v_or_b32_sdwa v19, v19, v21 dst_sel:DWORD dst_unused:UNUSED_PAD src0_sel:WORD_0 src1_sel:DWORD
	v_lshrrev_b32_e32 v21, 24, v20
	v_lshlrev_b16_e32 v21, 8, v21
	v_and_b32_sdwa v29, v20, s0 dst_sel:DWORD dst_unused:UNUSED_PAD src0_sel:WORD_1 src1_sel:DWORD
	v_or_b32_sdwa v21, v29, v21 dst_sel:WORD_1 dst_unused:UNUSED_PAD src0_sel:DWORD src1_sel:DWORD
	v_mov_b32_e32 v29, 8
	v_lshrrev_b32_sdwa v20, v29, v20 dst_sel:BYTE_1 dst_unused:UNUSED_PAD src0_sel:DWORD src1_sel:DWORD
	s_nop 0
	v_or_b32_e32 v18, v18, v20
	v_or_b32_sdwa v18, v18, v21 dst_sel:DWORD dst_unused:UNUSED_PAD src0_sel:WORD_0 src1_sel:DWORD
.LBB112_43:
	s_or_b64 exec, exec, s[2:3]
	s_andn2_b64 vcc, exec, s[40:41]
	s_cbranch_vccnz .LBB112_45
; %bb.44:
	s_waitcnt vmcnt(0) lgkmcnt(0)
	v_and_b32_e32 v20, 0xffff0000, v18
	v_cmp_gt_u32_e32 vcc, s46, v22
	s_mov_b32 s0, 0x40c0100
	s_nop 0
	v_cndmask_b32_e32 v20, v20, v18, vcc
	v_and_b32_e32 v20, 0xffff00ff, v20
	v_cmp_gt_u32_e32 vcc, s46, v24
	s_nop 1
	v_cndmask_b32_e32 v20, v20, v18, vcc
	v_lshrrev_b32_e32 v21, 24, v20
	v_perm_b32 v20, v21, v20, s0
	v_cmp_gt_u32_e32 vcc, s46, v23
	v_and_b32_e32 v21, 0xffffff00, v19
	s_nop 0
	v_cndmask_b32_e32 v20, v20, v18, vcc
	v_and_b32_e32 v20, 0xffffff, v20
	v_cmp_gt_u32_e32 vcc, s46, v27
	s_nop 1
	v_cndmask_b32_e32 v20, v20, v18, vcc
	v_cmp_gt_u32_e32 vcc, s46, v25
	s_nop 1
	v_cndmask_b32_e32 v21, v21, v19, vcc
	v_and_b32_e32 v21, 0xffff00ff, v21
	v_cndmask_b32_e32 v20, v20, v18, vcc
	v_cmp_gt_u32_e32 vcc, s46, v28
	s_nop 1
	v_cndmask_b32_e32 v21, v21, v19, vcc
	v_lshrrev_b32_e32 v22, 24, v21
	v_cndmask_b32_e32 v20, v20, v18, vcc
	v_perm_b32 v21, v22, v21, s0
	v_cmp_gt_u32_e32 vcc, s46, v26
	s_mov_b32 s0, 0x3020104
	s_nop 0
	v_cndmask_b32_e32 v18, v20, v18, vcc
	v_cndmask_b32_e32 v19, v21, v19, vcc
	v_mov_b32_e32 v20, 8
	v_lshrrev_b32_sdwa v20, v20, v19 dst_sel:BYTE_1 dst_unused:UNUSED_PAD src0_sel:DWORD src1_sel:DWORD
	v_perm_b32 v18, v18, v18, s0
	v_or_b32_sdwa v20, v19, v20 dst_sel:DWORD dst_unused:UNUSED_PAD src0_sel:BYTE_0 src1_sel:DWORD
	v_and_b32_e32 v20, 0xffff, v20
	v_bfe_u32 v19, v19, 16, 8
	v_lshl_or_b32 v19, v19, 16, v20
.LBB112_45:
	s_waitcnt vmcnt(0) lgkmcnt(0)
	v_and_b32_e32 v31, 0xff, v18
	v_bfe_u32 v33, v18, 8, 8
	v_bfe_u32 v35, v18, 16, 8
	v_alignbit_b32 v20, v19, v18, 24
	v_and_b32_e32 v37, 0xff, v20
	v_and_b32_e32 v39, 0xff, v19
	v_add3_u32 v21, v33, v31, v35
	v_bfe_u32 v40, v19, 8, 8
	v_bfe_u32 v20, v19, 16, 8
	v_add3_u32 v21, v21, v37, v39
	v_add3_u32 v43, v21, v40, v20
	v_mbcnt_lo_u32_b32 v20, -1, 0
	v_mbcnt_hi_u32_b32 v41, -1, v20
	v_and_b32_e32 v20, 15, v41
	v_cmp_eq_u32_e64 s[14:15], 0, v20
	v_cmp_lt_u32_e64 s[12:13], 1, v20
	v_cmp_lt_u32_e64 s[10:11], 3, v20
	;; [unrolled: 1-line block ×3, first 2 shown]
	v_and_b32_e32 v20, 16, v41
	v_cmp_eq_u32_e64 s[6:7], 0, v20
	v_or_b32_e32 v20, 63, v0
	v_cmp_lt_u32_e64 s[2:3], 31, v41
	v_lshrrev_b32_e32 v42, 6, v0
	v_cmp_eq_u32_e64 s[4:5], v20, v0
	s_and_b64 vcc, exec, s[42:43]
	s_barrier
	s_cbranch_vccz .LBB112_76
; %bb.46:
	v_mov_b32_dpp v20, v43 row_shr:1 row_mask:0xf bank_mask:0xf
	v_cndmask_b32_e64 v20, v20, 0, s[14:15]
	v_add_u32_e32 v20, v20, v43
	s_nop 1
	v_mov_b32_dpp v21, v20 row_shr:2 row_mask:0xf bank_mask:0xf
	v_cndmask_b32_e64 v21, 0, v21, s[12:13]
	v_add_u32_e32 v20, v20, v21
	s_nop 1
	;; [unrolled: 4-line block ×4, first 2 shown]
	v_mov_b32_dpp v21, v20 row_bcast:15 row_mask:0xf bank_mask:0xf
	v_cndmask_b32_e64 v21, v21, 0, s[6:7]
	v_add_u32_e32 v20, v20, v21
	s_nop 1
	v_mov_b32_dpp v21, v20 row_bcast:31 row_mask:0xf bank_mask:0xf
	v_cndmask_b32_e64 v21, 0, v21, s[2:3]
	v_add_u32_e32 v20, v20, v21
	s_and_saveexec_b64 s[0:1], s[4:5]
	s_cbranch_execz .LBB112_48
; %bb.47:
	v_lshlrev_b32_e32 v21, 2, v42
	ds_write_b32 v21, v20
.LBB112_48:
	s_or_b64 exec, exec, s[0:1]
	v_cmp_gt_u32_e32 vcc, 8, v0
	s_waitcnt lgkmcnt(0)
	s_barrier
	s_and_saveexec_b64 s[0:1], vcc
	s_cbranch_execz .LBB112_50
; %bb.49:
	v_lshlrev_b32_e32 v21, 2, v0
	ds_read_b32 v22, v21
	v_and_b32_e32 v23, 7, v41
	v_cmp_ne_u32_e32 vcc, 0, v23
	s_waitcnt lgkmcnt(0)
	v_mov_b32_dpp v24, v22 row_shr:1 row_mask:0xf bank_mask:0xf
	v_cndmask_b32_e32 v24, 0, v24, vcc
	v_add_u32_e32 v22, v24, v22
	v_cmp_lt_u32_e32 vcc, 1, v23
	s_nop 0
	v_mov_b32_dpp v24, v22 row_shr:2 row_mask:0xf bank_mask:0xf
	v_cndmask_b32_e32 v24, 0, v24, vcc
	v_add_u32_e32 v22, v22, v24
	v_cmp_lt_u32_e32 vcc, 3, v23
	s_nop 0
	v_mov_b32_dpp v24, v22 row_shr:4 row_mask:0xf bank_mask:0xf
	v_cndmask_b32_e32 v23, 0, v24, vcc
	v_add_u32_e32 v22, v22, v23
	ds_write_b32 v21, v22
.LBB112_50:
	s_or_b64 exec, exec, s[0:1]
	v_cmp_gt_u32_e32 vcc, 64, v0
	v_cmp_lt_u32_e64 s[0:1], 63, v0
	s_waitcnt lgkmcnt(0)
	s_barrier
	s_waitcnt lgkmcnt(0)
                                        ; implicit-def: $vgpr30
	s_and_saveexec_b64 s[16:17], s[0:1]
	s_cbranch_execz .LBB112_52
; %bb.51:
	v_lshl_add_u32 v21, v42, 2, -4
	ds_read_b32 v30, v21
	s_waitcnt lgkmcnt(0)
	v_add_u32_e32 v20, v30, v20
.LBB112_52:
	s_or_b64 exec, exec, s[16:17]
	v_add_u32_e32 v21, -1, v41
	v_and_b32_e32 v22, 64, v41
	v_cmp_lt_i32_e64 s[0:1], v21, v22
	v_cmp_eq_u32_e64 s[16:17], 0, v41
	s_nop 0
	v_cndmask_b32_e64 v21, v21, v41, s[0:1]
	v_lshlrev_b32_e32 v21, 2, v21
	ds_bpermute_b32 v32, v21, v20
	s_and_saveexec_b64 s[0:1], vcc
	s_cbranch_execz .LBB112_75
; %bb.53:
	v_mov_b32_e32 v29, 0
	ds_read_b32 v20, v29 offset:28
	s_and_saveexec_b64 s[20:21], s[16:17]
	s_cbranch_execz .LBB112_55
; %bb.54:
	s_add_i32 s22, s33, 64
	s_mov_b32 s23, 0
	s_lshl_b64 s[22:23], s[22:23], 3
	s_add_u32 s22, s38, s22
	v_mov_b32_e32 v21, 1
	s_addc_u32 s23, s39, s23
	s_waitcnt lgkmcnt(0)
	global_store_dwordx2 v29, v[20:21], s[22:23] sc1
.LBB112_55:
	s_or_b64 exec, exec, s[20:21]
	v_xad_u32 v22, v41, -1, s33
	v_add_u32_e32 v28, 64, v22
	v_lshl_add_u64 v[24:25], v[28:29], 3, s[38:39]
	global_load_dwordx2 v[26:27], v[24:25], off sc1
	s_waitcnt vmcnt(0)
	v_cmp_eq_u16_sdwa s[22:23], v27, v29 src0_sel:BYTE_0 src1_sel:DWORD
	s_and_saveexec_b64 s[20:21], s[22:23]
	s_cbranch_execz .LBB112_61
; %bb.56:
	s_mov_b32 s24, 1
	s_mov_b64 s[22:23], 0
	v_mov_b32_e32 v21, 0
.LBB112_57:                             ; =>This Loop Header: Depth=1
                                        ;     Child Loop BB112_58 Depth 2
	s_max_u32 s25, s24, 1
.LBB112_58:                             ;   Parent Loop BB112_57 Depth=1
                                        ; =>  This Inner Loop Header: Depth=2
	s_add_i32 s25, s25, -1
	s_cmp_eq_u32 s25, 0
	s_sleep 1
	s_cbranch_scc0 .LBB112_58
; %bb.59:                               ;   in Loop: Header=BB112_57 Depth=1
	global_load_dwordx2 v[26:27], v[24:25], off sc1
	s_cmp_lt_u32 s24, 32
	s_cselect_b64 s[26:27], -1, 0
	s_cmp_lg_u64 s[26:27], 0
	s_addc_u32 s24, s24, 0
	s_waitcnt vmcnt(0)
	v_cmp_ne_u16_sdwa s[26:27], v27, v21 src0_sel:BYTE_0 src1_sel:DWORD
	s_or_b64 s[22:23], s[26:27], s[22:23]
	s_andn2_b64 exec, exec, s[22:23]
	s_cbranch_execnz .LBB112_57
; %bb.60:
	s_or_b64 exec, exec, s[22:23]
.LBB112_61:
	s_or_b64 exec, exec, s[20:21]
	v_and_b32_e32 v36, 63, v41
	v_mov_b32_e32 v34, 2
	v_cmp_ne_u32_e32 vcc, 63, v36
	v_cmp_eq_u16_sdwa s[20:21], v27, v34 src0_sel:BYTE_0 src1_sel:DWORD
	v_lshlrev_b64 v[24:25], v41, -1
	v_addc_co_u32_e32 v28, vcc, 0, v41, vcc
	v_and_b32_e32 v21, s21, v25
	v_lshlrev_b32_e32 v38, 2, v28
	v_or_b32_e32 v21, 0x80000000, v21
	ds_bpermute_b32 v28, v38, v26
	v_and_b32_e32 v23, s20, v24
	v_ffbl_b32_e32 v21, v21
	v_add_u32_e32 v21, 32, v21
	v_ffbl_b32_e32 v23, v23
	v_min_u32_e32 v21, v23, v21
	v_cmp_lt_u32_e32 vcc, v36, v21
	v_add_u32_e32 v45, 2, v36
	v_add_u32_e32 v47, 4, v36
	s_waitcnt lgkmcnt(0)
	v_cndmask_b32_e32 v23, 0, v28, vcc
	v_cmp_gt_u32_e32 vcc, 62, v36
	v_add_u32_e32 v23, v23, v26
	v_add_u32_e32 v49, 8, v36
	v_cndmask_b32_e64 v26, 0, 1, vcc
	v_lshlrev_b32_e32 v26, 1, v26
	v_add_lshl_u32 v44, v26, v41, 2
	ds_bpermute_b32 v26, v44, v23
	v_cmp_le_u32_e32 vcc, v45, v21
	v_add_u32_e32 v51, 16, v36
	v_add_u32_e32 v53, 32, v36
	s_waitcnt lgkmcnt(0)
	v_cndmask_b32_e32 v26, 0, v26, vcc
	v_cmp_gt_u32_e32 vcc, 60, v36
	v_add_u32_e32 v23, v23, v26
	s_nop 0
	v_cndmask_b32_e64 v26, 0, 1, vcc
	v_lshlrev_b32_e32 v26, 2, v26
	v_add_lshl_u32 v46, v26, v41, 2
	ds_bpermute_b32 v26, v46, v23
	v_cmp_le_u32_e32 vcc, v47, v21
	s_waitcnt lgkmcnt(0)
	s_nop 0
	v_cndmask_b32_e32 v26, 0, v26, vcc
	v_cmp_gt_u32_e32 vcc, 56, v36
	v_add_u32_e32 v23, v23, v26
	s_nop 0
	v_cndmask_b32_e64 v26, 0, 1, vcc
	v_lshlrev_b32_e32 v26, 3, v26
	v_add_lshl_u32 v48, v26, v41, 2
	ds_bpermute_b32 v26, v48, v23
	v_cmp_le_u32_e32 vcc, v49, v21
	s_waitcnt lgkmcnt(0)
	s_nop 0
	;; [unrolled: 11-line block ×4, first 2 shown]
	v_cndmask_b32_e32 v21, 0, v26, vcc
	v_add_u32_e32 v26, v23, v21
	v_mov_b32_e32 v23, 0
	s_branch .LBB112_63
.LBB112_62:                             ;   in Loop: Header=BB112_63 Depth=1
	s_or_b64 exec, exec, s[20:21]
	v_cmp_eq_u16_sdwa s[20:21], v27, v34 src0_sel:BYTE_0 src1_sel:DWORD
	ds_bpermute_b32 v54, v38, v26
	v_subrev_u32_e32 v22, 64, v22
	v_and_b32_e32 v28, s21, v25
	v_or_b32_e32 v28, 0x80000000, v28
	v_and_b32_e32 v29, s20, v24
	v_ffbl_b32_e32 v28, v28
	v_add_u32_e32 v28, 32, v28
	v_ffbl_b32_e32 v29, v29
	v_min_u32_e32 v28, v29, v28
	v_cmp_lt_u32_e32 vcc, v36, v28
	s_waitcnt lgkmcnt(0)
	s_nop 0
	v_cndmask_b32_e32 v29, 0, v54, vcc
	v_add_u32_e32 v26, v29, v26
	ds_bpermute_b32 v29, v44, v26
	v_cmp_le_u32_e32 vcc, v45, v28
	s_waitcnt lgkmcnt(0)
	s_nop 0
	v_cndmask_b32_e32 v29, 0, v29, vcc
	v_add_u32_e32 v26, v26, v29
	ds_bpermute_b32 v29, v46, v26
	v_cmp_le_u32_e32 vcc, v47, v28
	;; [unrolled: 6-line block ×5, first 2 shown]
	s_waitcnt lgkmcnt(0)
	s_nop 0
	v_cndmask_b32_e32 v28, 0, v29, vcc
	v_add3_u32 v26, v28, v21, v26
.LBB112_63:                             ; =>This Loop Header: Depth=1
                                        ;     Child Loop BB112_66 Depth 2
                                        ;       Child Loop BB112_67 Depth 3
	v_cmp_ne_u16_sdwa s[20:21], v27, v34 src0_sel:BYTE_0 src1_sel:DWORD
	s_nop 1
	v_cndmask_b32_e64 v21, 0, 1, s[20:21]
	;;#ASMSTART
	;;#ASMEND
	s_nop 0
	v_cmp_ne_u32_e32 vcc, 0, v21
	s_cmp_lg_u64 vcc, exec
	v_mov_b32_e32 v21, v26
	s_cbranch_scc1 .LBB112_70
; %bb.64:                               ;   in Loop: Header=BB112_63 Depth=1
	v_lshl_add_u64 v[28:29], v[22:23], 3, s[38:39]
	global_load_dwordx2 v[26:27], v[28:29], off sc1
	s_waitcnt vmcnt(0)
	v_cmp_eq_u16_sdwa s[22:23], v27, v23 src0_sel:BYTE_0 src1_sel:DWORD
	s_and_saveexec_b64 s[20:21], s[22:23]
	s_cbranch_execz .LBB112_62
; %bb.65:                               ;   in Loop: Header=BB112_63 Depth=1
	s_mov_b32 s24, 1
	s_mov_b64 s[22:23], 0
.LBB112_66:                             ;   Parent Loop BB112_63 Depth=1
                                        ; =>  This Loop Header: Depth=2
                                        ;       Child Loop BB112_67 Depth 3
	s_max_u32 s25, s24, 1
.LBB112_67:                             ;   Parent Loop BB112_63 Depth=1
                                        ;     Parent Loop BB112_66 Depth=2
                                        ; =>    This Inner Loop Header: Depth=3
	s_add_i32 s25, s25, -1
	s_cmp_eq_u32 s25, 0
	s_sleep 1
	s_cbranch_scc0 .LBB112_67
; %bb.68:                               ;   in Loop: Header=BB112_66 Depth=2
	global_load_dwordx2 v[26:27], v[28:29], off sc1
	s_cmp_lt_u32 s24, 32
	s_cselect_b64 s[26:27], -1, 0
	s_cmp_lg_u64 s[26:27], 0
	s_addc_u32 s24, s24, 0
	s_waitcnt vmcnt(0)
	v_cmp_ne_u16_sdwa s[26:27], v27, v23 src0_sel:BYTE_0 src1_sel:DWORD
	s_or_b64 s[22:23], s[26:27], s[22:23]
	s_andn2_b64 exec, exec, s[22:23]
	s_cbranch_execnz .LBB112_66
; %bb.69:                               ;   in Loop: Header=BB112_63 Depth=1
	s_or_b64 exec, exec, s[22:23]
	s_branch .LBB112_62
.LBB112_70:                             ;   in Loop: Header=BB112_63 Depth=1
                                        ; implicit-def: $vgpr26
                                        ; implicit-def: $vgpr27
	s_cbranch_execz .LBB112_63
; %bb.71:
	s_and_saveexec_b64 s[20:21], s[16:17]
	s_cbranch_execz .LBB112_73
; %bb.72:
	s_add_i32 s22, s33, 64
	s_mov_b32 s23, 0
	s_lshl_b64 s[22:23], s[22:23], 3
	s_add_u32 s22, s38, s22
	v_add_u32_e32 v22, v21, v20
	v_mov_b32_e32 v23, 2
	s_addc_u32 s23, s39, s23
	v_mov_b32_e32 v24, 0
	global_store_dwordx2 v24, v[22:23], s[22:23] sc1
	ds_write_b64 v24, v[20:21] offset:28672
.LBB112_73:
	s_or_b64 exec, exec, s[20:21]
	s_and_b64 exec, exec, s[18:19]
	s_cbranch_execz .LBB112_75
; %bb.74:
	v_mov_b32_e32 v20, 0
	ds_write_b32 v20, v21 offset:28
.LBB112_75:
	s_or_b64 exec, exec, s[0:1]
	v_mov_b32_e32 v20, 0
	s_waitcnt lgkmcnt(0)
	s_barrier
	ds_read_b32 v21, v20 offset:28
	v_cndmask_b32_e64 v22, v32, v30, s[16:17]
	v_cndmask_b32_e64 v22, v22, 0, s[18:19]
	s_waitcnt lgkmcnt(0)
	s_barrier
	v_add_u32_e32 v38, v21, v22
	v_add_u32_e32 v36, v38, v31
	ds_read_b64 v[20:21], v20 offset:28672
	v_add_u32_e32 v34, v36, v33
	v_add_u32_e32 v32, v34, v35
	;; [unrolled: 1-line block ×5, first 2 shown]
	s_waitcnt lgkmcnt(0)
	v_mov_b32_e32 v22, v21
	v_lshrrev_b64 v[24:25], 24, v[18:19]
	s_branch .LBB112_86
.LBB112_76:
                                        ; implicit-def: $vgpr22
                                        ; implicit-def: $vgpr20
                                        ; implicit-def: $vgpr26
                                        ; implicit-def: $vgpr28
                                        ; implicit-def: $vgpr30
                                        ; implicit-def: $vgpr32
                                        ; implicit-def: $vgpr34
                                        ; implicit-def: $vgpr36
                                        ; implicit-def: $vgpr38
	v_lshrrev_b64 v[24:25], 24, v[18:19]
	s_cbranch_execz .LBB112_86
; %bb.77:
	v_mov_b32_dpp v20, v43 row_shr:1 row_mask:0xf bank_mask:0xf
	v_cndmask_b32_e64 v20, v20, 0, s[14:15]
	v_add_u32_e32 v20, v20, v43
	s_nop 1
	v_mov_b32_dpp v21, v20 row_shr:2 row_mask:0xf bank_mask:0xf
	v_cndmask_b32_e64 v21, 0, v21, s[12:13]
	v_add_u32_e32 v20, v20, v21
	s_nop 1
	;; [unrolled: 4-line block ×4, first 2 shown]
	v_mov_b32_dpp v21, v20 row_bcast:15 row_mask:0xf bank_mask:0xf
	v_cndmask_b32_e64 v21, v21, 0, s[6:7]
	v_add_u32_e32 v20, v20, v21
	s_nop 1
	v_mov_b32_dpp v21, v20 row_bcast:31 row_mask:0xf bank_mask:0xf
	v_cndmask_b32_e64 v21, 0, v21, s[2:3]
	v_add_u32_e32 v20, v20, v21
	s_and_saveexec_b64 s[0:1], s[4:5]
	s_cbranch_execz .LBB112_79
; %bb.78:
	v_lshlrev_b32_e32 v21, 2, v42
	ds_write_b32 v21, v20
.LBB112_79:
	s_or_b64 exec, exec, s[0:1]
	v_cmp_gt_u32_e32 vcc, 8, v0
	s_waitcnt lgkmcnt(0)
	s_barrier
	s_and_saveexec_b64 s[0:1], vcc
	s_cbranch_execz .LBB112_81
; %bb.80:
	s_movk_i32 s2, 0xffcc
	v_mad_i32_i24 v1, v0, s2, v1
	ds_read_b32 v21, v1
	v_and_b32_e32 v22, 7, v41
	v_cmp_ne_u32_e32 vcc, 0, v22
	s_waitcnt lgkmcnt(0)
	v_mov_b32_dpp v23, v21 row_shr:1 row_mask:0xf bank_mask:0xf
	v_cndmask_b32_e32 v23, 0, v23, vcc
	v_add_u32_e32 v21, v23, v21
	v_cmp_lt_u32_e32 vcc, 1, v22
	s_nop 0
	v_mov_b32_dpp v23, v21 row_shr:2 row_mask:0xf bank_mask:0xf
	v_cndmask_b32_e32 v23, 0, v23, vcc
	v_add_u32_e32 v21, v21, v23
	v_cmp_lt_u32_e32 vcc, 3, v22
	s_nop 0
	v_mov_b32_dpp v23, v21 row_shr:4 row_mask:0xf bank_mask:0xf
	v_cndmask_b32_e32 v22, 0, v23, vcc
	v_add_u32_e32 v21, v21, v22
	ds_write_b32 v1, v21
.LBB112_81:
	s_or_b64 exec, exec, s[0:1]
	v_cmp_lt_u32_e32 vcc, 63, v0
	v_mov_b32_e32 v21, 0
	v_mov_b32_e32 v1, 0
	s_waitcnt lgkmcnt(0)
	s_barrier
	s_and_saveexec_b64 s[0:1], vcc
	s_cbranch_execz .LBB112_83
; %bb.82:
	v_lshl_add_u32 v1, v42, 2, -4
	ds_read_b32 v1, v1
.LBB112_83:
	s_or_b64 exec, exec, s[0:1]
	v_add_u32_e32 v22, -1, v41
	v_and_b32_e32 v23, 64, v41
	v_cmp_lt_i32_e32 vcc, v22, v23
	s_waitcnt lgkmcnt(0)
	v_add_u32_e32 v20, v1, v20
	v_cndmask_b32_e32 v22, v22, v41, vcc
	v_lshlrev_b32_e32 v22, 2, v22
	ds_bpermute_b32 v22, v22, v20
	ds_read_b32 v20, v21 offset:28
	s_and_saveexec_b64 s[0:1], s[18:19]
	s_cbranch_execz .LBB112_85
; %bb.84:
	v_mov_b32_e32 v23, 0
	v_mov_b32_e32 v21, 2
	s_waitcnt lgkmcnt(0)
	global_store_dwordx2 v23, v[20:21], s[38:39] offset:512 sc1
.LBB112_85:
	s_or_b64 exec, exec, s[0:1]
	v_cmp_eq_u32_e32 vcc, 0, v41
	s_waitcnt lgkmcnt(0)
	s_barrier
	v_cndmask_b32_e32 v1, v22, v1, vcc
	v_cndmask_b32_e64 v38, v1, 0, s[18:19]
	v_add_u32_e32 v36, v38, v31
	v_add_u32_e32 v34, v36, v33
	;; [unrolled: 1-line block ×5, first 2 shown]
	v_mov_b32_e32 v22, 0
	v_add_u32_e32 v26, v28, v40
.LBB112_86:
	s_movk_i32 s0, 0x201
	v_cmp_gt_u32_e32 vcc, s0, v20
	v_lshrrev_b32_e32 v21, 8, v18
	v_lshrrev_b32_e32 v1, 8, v19
	s_mov_b64 s[0:1], -1
	s_cbranch_vccnz .LBB112_90
; %bb.87:
	s_and_b64 vcc, exec, s[0:1]
	s_cbranch_vccnz .LBB112_112
.LBB112_88:
	s_and_b64 s[0:1], s[18:19], s[30:31]
	s_and_saveexec_b64 s[2:3], s[0:1]
	s_cbranch_execnz .LBB112_140
.LBB112_89:
	s_endpgm
.LBB112_90:
	v_add_u32_e32 v23, v22, v20
	v_lshlrev_b64 v[40:41], 3, v[14:15]
	v_cmp_lt_u32_e32 vcc, v38, v23
	v_lshl_add_u64 v[40:41], s[34:35], 0, v[40:41]
	s_or_b64 s[2:3], s[36:37], vcc
	s_and_saveexec_b64 s[0:1], s[2:3]
	s_cbranch_execz .LBB112_93
; %bb.91:
	v_and_b32_e32 v25, 1, v18
	v_cmp_eq_u32_e32 vcc, 1, v25
	s_and_b64 exec, exec, vcc
	s_cbranch_execz .LBB112_93
; %bb.92:
	v_mov_b32_e32 v39, 0
	v_lshl_add_u64 v[42:43], v[38:39], 3, v[40:41]
	global_store_dwordx2 v[42:43], v[10:11], off
.LBB112_93:
	s_or_b64 exec, exec, s[0:1]
	v_cmp_lt_u32_e32 vcc, v36, v23
	s_or_b64 s[2:3], s[36:37], vcc
	s_and_saveexec_b64 s[0:1], s[2:3]
	s_cbranch_execz .LBB112_96
; %bb.94:
	v_and_b32_e32 v25, 1, v21
	v_cmp_eq_u32_e32 vcc, 1, v25
	s_and_b64 exec, exec, vcc
	s_cbranch_execz .LBB112_96
; %bb.95:
	v_mov_b32_e32 v37, 0
	v_lshl_add_u64 v[42:43], v[36:37], 3, v[40:41]
	global_store_dwordx2 v[42:43], v[12:13], off
.LBB112_96:
	s_or_b64 exec, exec, s[0:1]
	v_cmp_lt_u32_e32 vcc, v34, v23
	s_or_b64 s[2:3], s[36:37], vcc
	s_and_saveexec_b64 s[0:1], s[2:3]
	s_cbranch_execz .LBB112_99
; %bb.97:
	v_mov_b32_e32 v25, 1
	v_and_b32_sdwa v25, v25, v18 dst_sel:DWORD dst_unused:UNUSED_PAD src0_sel:DWORD src1_sel:WORD_1
	v_cmp_eq_u32_e32 vcc, 1, v25
	s_and_b64 exec, exec, vcc
	s_cbranch_execz .LBB112_99
; %bb.98:
	v_mov_b32_e32 v35, 0
	v_lshl_add_u64 v[42:43], v[34:35], 3, v[40:41]
	global_store_dwordx2 v[42:43], v[6:7], off
.LBB112_99:
	s_or_b64 exec, exec, s[0:1]
	v_cmp_lt_u32_e32 vcc, v32, v23
	s_or_b64 s[2:3], s[36:37], vcc
	s_and_saveexec_b64 s[0:1], s[2:3]
	s_cbranch_execz .LBB112_102
; %bb.100:
	v_and_b32_e32 v25, 1, v24
	v_cmp_eq_u32_e32 vcc, 1, v25
	s_and_b64 exec, exec, vcc
	s_cbranch_execz .LBB112_102
; %bb.101:
	v_mov_b32_e32 v33, 0
	v_lshl_add_u64 v[42:43], v[32:33], 3, v[40:41]
	global_store_dwordx2 v[42:43], v[8:9], off
.LBB112_102:
	s_or_b64 exec, exec, s[0:1]
	v_cmp_lt_u32_e32 vcc, v30, v23
	s_or_b64 s[2:3], s[36:37], vcc
	s_and_saveexec_b64 s[0:1], s[2:3]
	s_cbranch_execz .LBB112_105
; %bb.103:
	v_and_b32_e32 v25, 1, v19
	v_cmp_eq_u32_e32 vcc, 1, v25
	s_and_b64 exec, exec, vcc
	s_cbranch_execz .LBB112_105
; %bb.104:
	v_mov_b32_e32 v31, 0
	v_lshl_add_u64 v[42:43], v[30:31], 3, v[40:41]
	global_store_dwordx2 v[42:43], v[2:3], off
.LBB112_105:
	;; [unrolled: 15-line block ×3, first 2 shown]
	s_or_b64 exec, exec, s[0:1]
	v_cmp_lt_u32_e32 vcc, v26, v23
	s_or_b64 s[2:3], s[36:37], vcc
	s_and_saveexec_b64 s[0:1], s[2:3]
	s_cbranch_execz .LBB112_111
; %bb.109:
	v_mov_b32_e32 v23, 1
	v_and_b32_sdwa v23, v23, v19 dst_sel:DWORD dst_unused:UNUSED_PAD src0_sel:DWORD src1_sel:WORD_1
	v_cmp_eq_u32_e32 vcc, 1, v23
	s_and_b64 exec, exec, vcc
	s_cbranch_execz .LBB112_111
; %bb.110:
	v_mov_b32_e32 v27, 0
	v_lshl_add_u64 v[40:41], v[26:27], 3, v[40:41]
	global_store_dwordx2 v[40:41], v[16:17], off
.LBB112_111:
	s_or_b64 exec, exec, s[0:1]
	s_branch .LBB112_88
.LBB112_112:
	v_and_b32_e32 v23, 1, v18
	v_cmp_eq_u32_e32 vcc, 1, v23
	s_and_saveexec_b64 s[0:1], vcc
	s_cbranch_execz .LBB112_114
; %bb.113:
	v_sub_u32_e32 v23, v38, v22
	v_lshlrev_b32_e32 v23, 3, v23
	ds_write_b64 v23, v[10:11]
.LBB112_114:
	s_or_b64 exec, exec, s[0:1]
	v_and_b32_e32 v10, 1, v21
	v_cmp_eq_u32_e32 vcc, 1, v10
	s_and_saveexec_b64 s[0:1], vcc
	s_cbranch_execz .LBB112_116
; %bb.115:
	v_sub_u32_e32 v10, v36, v22
	v_lshlrev_b32_e32 v10, 3, v10
	ds_write_b64 v10, v[12:13]
.LBB112_116:
	s_or_b64 exec, exec, s[0:1]
	v_mov_b32_e32 v10, 1
	v_and_b32_sdwa v10, v10, v18 dst_sel:DWORD dst_unused:UNUSED_PAD src0_sel:DWORD src1_sel:WORD_1
	v_cmp_eq_u32_e32 vcc, 1, v10
	s_and_saveexec_b64 s[0:1], vcc
	s_cbranch_execz .LBB112_118
; %bb.117:
	v_sub_u32_e32 v10, v34, v22
	v_lshlrev_b32_e32 v10, 3, v10
	ds_write_b64 v10, v[6:7]
.LBB112_118:
	s_or_b64 exec, exec, s[0:1]
	v_and_b32_e32 v6, 1, v24
	v_cmp_eq_u32_e32 vcc, 1, v6
	s_and_saveexec_b64 s[0:1], vcc
	s_cbranch_execz .LBB112_120
; %bb.119:
	v_sub_u32_e32 v6, v32, v22
	v_lshlrev_b32_e32 v6, 3, v6
	ds_write_b64 v6, v[8:9]
.LBB112_120:
	s_or_b64 exec, exec, s[0:1]
	v_and_b32_e32 v6, 1, v19
	;; [unrolled: 10-line block ×3, first 2 shown]
	v_cmp_eq_u32_e32 vcc, 1, v1
	s_and_saveexec_b64 s[0:1], vcc
	s_cbranch_execz .LBB112_124
; %bb.123:
	v_sub_u32_e32 v1, v28, v22
	v_lshlrev_b32_e32 v1, 3, v1
	ds_write_b64 v1, v[4:5]
.LBB112_124:
	s_or_b64 exec, exec, s[0:1]
	v_mov_b32_e32 v1, 1
	v_and_b32_sdwa v1, v1, v19 dst_sel:DWORD dst_unused:UNUSED_PAD src0_sel:DWORD src1_sel:WORD_1
	v_cmp_eq_u32_e32 vcc, 1, v1
	s_and_saveexec_b64 s[0:1], vcc
	s_cbranch_execz .LBB112_126
; %bb.125:
	v_sub_u32_e32 v1, v26, v22
	v_lshlrev_b32_e32 v1, 3, v1
	ds_write_b64 v1, v[16:17]
.LBB112_126:
	s_or_b64 exec, exec, s[0:1]
	v_cmp_lt_u32_e32 vcc, v0, v20
	s_waitcnt lgkmcnt(0)
	s_barrier
	s_and_saveexec_b64 s[0:1], vcc
	s_cbranch_execz .LBB112_139
; %bb.127:
	v_mov_b32_e32 v23, 0
	v_lshlrev_b64 v[2:3], 3, v[14:15]
	v_lshl_add_u64 v[2:3], s[34:35], 0, v[2:3]
	v_lshlrev_b64 v[4:5], 3, v[22:23]
	v_xad_u32 v1, v0, -1, v20
	s_movk_i32 s2, 0x1ff
	v_lshl_add_u64 v[2:3], v[2:3], 0, v[4:5]
	v_cmp_lt_u32_e32 vcc, s2, v1
	s_mov_b64 s[4:5], -1
	s_and_saveexec_b64 s[2:3], vcc
	s_cbranch_execz .LBB112_136
; %bb.128:
	v_lshrrev_b32_e32 v8, 9, v1
	v_add_u32_e32 v4, -1, v8
	v_or_b32_e32 v1, 0x200, v0
	v_lshrrev_b32_e32 v5, 1, v4
	v_add_u32_e32 v10, 1, v5
	v_cmp_lt_u32_e32 vcc, 13, v4
	v_lshlrev_b32_e32 v9, 3, v0
	v_mov_b64_e32 v[4:5], v[0:1]
	s_and_saveexec_b64 s[4:5], vcc
	s_cbranch_execz .LBB112_132
; %bb.129:
	v_and_b32_e32 v11, -8, v10
	s_mov_b32 s8, 0
	s_mov_b64 s[6:7], 0
	v_mov_b32_e32 v7, 0
	v_mov_b32_e32 v12, v9
	v_mov_b64_e32 v[4:5], v[0:1]
.LBB112_130:                            ; =>This Inner Loop Header: Depth=1
	v_mov_b32_e32 v6, v4
	ds_read2st64_b64 v[16:19], v12 offset1:8
	ds_read2st64_b64 v[32:35], v12 offset0:48 offset1:56
	v_lshl_add_u64 v[66:67], v[6:7], 3, v[2:3]
	v_mov_b32_e32 v6, v5
	ds_read2st64_b64 v[24:27], v12 offset0:16 offset1:24
	ds_read2st64_b64 v[36:39], v12 offset0:64 offset1:72
	v_lshl_add_u64 v[68:69], v[6:7], 3, v[2:3]
	v_add_u32_e32 v6, 0x400, v4
	ds_read2st64_b64 v[40:43], v12 offset0:80 offset1:88
	v_lshl_add_u64 v[70:71], v[6:7], 3, v[2:3]
	v_add_u32_e32 v6, 0x800, v4
	v_add_u32_e32 v52, 0x400, v5
	v_mov_b32_e32 v53, v7
	v_add_u32_e32 v54, 0x800, v5
	v_mov_b32_e32 v55, v7
	ds_read2st64_b64 v[28:31], v12 offset0:32 offset1:40
	ds_read2st64_b64 v[44:47], v12 offset0:96 offset1:104
	v_lshl_add_u64 v[72:73], v[6:7], 3, v[2:3]
	v_add_u32_e32 v6, 0xc00, v4
	v_add_u32_e32 v56, 0xc00, v5
	v_mov_b32_e32 v57, v7
	ds_read2st64_b64 v[48:51], v12 offset0:112 offset1:120
	v_lshl_add_u64 v[52:53], v[52:53], 3, v[2:3]
	v_lshl_add_u64 v[54:55], v[54:55], 3, v[2:3]
	s_waitcnt lgkmcnt(7)
	global_store_dwordx2 v[66:67], v[16:17], off
	global_store_dwordx2 v[68:69], v[18:19], off
	s_waitcnt lgkmcnt(5)
	global_store_dwordx2 v[70:71], v[24:25], off
	global_store_dwordx2 v[52:53], v[26:27], off
	;; [unrolled: 3-line block ×3, first 2 shown]
	v_lshl_add_u64 v[16:17], v[6:7], 3, v[2:3]
	v_add_u32_e32 v6, 0x1000, v4
	v_add_u32_e32 v58, 0x1000, v5
	v_mov_b32_e32 v59, v7
	v_lshl_add_u64 v[56:57], v[56:57], 3, v[2:3]
	global_store_dwordx2 v[16:17], v[32:33], off
	global_store_dwordx2 v[56:57], v[34:35], off
	v_lshl_add_u64 v[16:17], v[6:7], 3, v[2:3]
	v_add_u32_e32 v6, 0x1400, v4
	v_add_u32_e32 v60, 0x1400, v5
	v_mov_b32_e32 v61, v7
	v_add_u32_e32 v11, -8, v11
	v_lshl_add_u64 v[58:59], v[58:59], 3, v[2:3]
	global_store_dwordx2 v[16:17], v[36:37], off
	global_store_dwordx2 v[58:59], v[38:39], off
	v_lshl_add_u64 v[16:17], v[6:7], 3, v[2:3]
	v_add_u32_e32 v6, 0x1800, v4
	v_add_u32_e32 v62, 0x1800, v5
	v_mov_b32_e32 v63, v7
	s_add_i32 s8, s8, 16
	v_lshl_add_u64 v[60:61], v[60:61], 3, v[2:3]
	v_cmp_eq_u32_e32 vcc, 0, v11
	global_store_dwordx2 v[16:17], v[40:41], off
	global_store_dwordx2 v[60:61], v[42:43], off
	v_lshl_add_u64 v[16:17], v[6:7], 3, v[2:3]
	v_add_u32_e32 v6, 0x1c00, v4
	v_add_u32_e32 v64, 0x1c00, v5
	v_mov_b32_e32 v65, v7
	v_add_u32_e32 v12, 0x10000, v12
	v_lshl_add_u64 v[62:63], v[62:63], 3, v[2:3]
	v_add_u32_e32 v5, 0x2000, v5
	v_mov_b32_e32 v23, s8
	s_or_b64 s[6:7], vcc, s[6:7]
	v_add_u32_e32 v4, 0x2000, v4
	s_waitcnt lgkmcnt(1)
	global_store_dwordx2 v[16:17], v[44:45], off
	global_store_dwordx2 v[62:63], v[46:47], off
	v_lshl_add_u64 v[16:17], v[6:7], 3, v[2:3]
	v_lshl_add_u64 v[64:65], v[64:65], 3, v[2:3]
	s_waitcnt lgkmcnt(0)
	global_store_dwordx2 v[16:17], v[48:49], off
	global_store_dwordx2 v[64:65], v[50:51], off
	s_andn2_b64 exec, exec, s[6:7]
	s_cbranch_execnz .LBB112_130
; %bb.131:
	s_or_b64 exec, exec, s[6:7]
.LBB112_132:
	s_or_b64 exec, exec, s[4:5]
	v_and_b32_e32 v1, 7, v10
	v_cmp_ne_u32_e32 vcc, 0, v1
	s_and_saveexec_b64 s[4:5], vcc
	s_cbranch_execz .LBB112_135
; %bb.133:
	v_lshl_or_b32 v9, v23, 12, v9
	s_mov_b64 s[6:7], 0
	v_mov_b32_e32 v7, 0
.LBB112_134:                            ; =>This Inner Loop Header: Depth=1
	ds_read2st64_b64 v[10:13], v9 offset1:8
	v_add_u32_e32 v1, -1, v1
	v_mov_b32_e32 v6, v4
	v_cmp_eq_u32_e32 vcc, 0, v1
	v_add_u32_e32 v4, 0x400, v4
	v_add_u32_e32 v9, 0x2000, v9
	v_lshl_add_u64 v[16:17], v[6:7], 3, v[2:3]
	v_mov_b32_e32 v6, v5
	v_add_u32_e32 v5, 0x400, v5
	s_or_b64 s[6:7], vcc, s[6:7]
	v_lshl_add_u64 v[18:19], v[6:7], 3, v[2:3]
	s_waitcnt lgkmcnt(0)
	global_store_dwordx2 v[16:17], v[10:11], off
	global_store_dwordx2 v[18:19], v[12:13], off
	s_andn2_b64 exec, exec, s[6:7]
	s_cbranch_execnz .LBB112_134
.LBB112_135:
	s_or_b64 exec, exec, s[4:5]
	v_add_u32_e32 v1, 1, v8
	v_and_b32_e32 v4, 0xfffffe, v1
	v_cmp_ne_u32_e32 vcc, v1, v4
	v_lshl_or_b32 v0, v4, 9, v0
	s_orn2_b64 s[4:5], vcc, exec
.LBB112_136:
	s_or_b64 exec, exec, s[2:3]
	s_and_b64 exec, exec, s[4:5]
	s_cbranch_execz .LBB112_139
; %bb.137:
	v_lshlrev_b32_e32 v4, 3, v0
	s_mov_b64 s[2:3], 0
	v_mov_b32_e32 v1, 0
.LBB112_138:                            ; =>This Inner Loop Header: Depth=1
	ds_read_b64 v[8:9], v4
	v_lshl_add_u64 v[6:7], v[0:1], 3, v[2:3]
	v_add_u32_e32 v0, 0x200, v0
	v_cmp_ge_u32_e32 vcc, v0, v20
	v_add_u32_e32 v4, 0x1000, v4
	s_or_b64 s[2:3], vcc, s[2:3]
	s_waitcnt lgkmcnt(0)
	global_store_dwordx2 v[6:7], v[8:9], off
	s_andn2_b64 exec, exec, s[2:3]
	s_cbranch_execnz .LBB112_138
.LBB112_139:
	s_or_b64 exec, exec, s[0:1]
	s_and_b64 s[0:1], s[18:19], s[30:31]
	s_and_saveexec_b64 s[2:3], s[0:1]
	s_cbranch_execz .LBB112_89
.LBB112_140:
	v_mov_b32_e32 v21, 0
	v_lshl_add_u64 v[0:1], v[14:15], 0, v[20:21]
	v_mov_b32_e32 v23, v21
	v_lshl_add_u64 v[0:1], v[0:1], 0, v[22:23]
	global_store_dwordx2 v21, v[0:1], s[28:29]
	s_endpgm
.LBB112_141:
	s_or_b64 exec, exec, s[4:5]
	s_and_saveexec_b64 s[2:3], s[44:45]
	s_cbranch_execnz .LBB112_42
	s_branch .LBB112_43
	.section	.rodata,"a",@progbits
	.p2align	6, 0x0
	.amdhsa_kernel _ZN7rocprim17ROCPRIM_400000_NS6detail17trampoline_kernelINS0_14default_configENS1_25partition_config_selectorILNS1_17partition_subalgoE8EN6thrust23THRUST_200600_302600_NS5tupleIffNS7_9null_typeES9_S9_S9_S9_S9_S9_S9_EENS0_10empty_typeEbEEZZNS1_14partition_implILS5_8ELb0ES3_jNS7_6detail15normal_iteratorINS7_10device_ptrISA_EEEEPSB_PKSB_NS0_5tupleIJSI_SB_EEENSM_IJSJ_SJ_EEENS0_18inequality_wrapperINS7_8equal_toISA_EEEEPmJSB_EEE10hipError_tPvRmT3_T4_T5_T6_T7_T9_mT8_P12ihipStream_tbDpT10_ENKUlT_T0_E_clISt17integral_constantIbLb1EES1D_EEDaS18_S19_EUlS18_E_NS1_11comp_targetILNS1_3genE5ELNS1_11target_archE942ELNS1_3gpuE9ELNS1_3repE0EEENS1_30default_config_static_selectorELNS0_4arch9wavefront6targetE1EEEvT1_
		.amdhsa_group_segment_fixed_size 28680
		.amdhsa_private_segment_fixed_size 0
		.amdhsa_kernarg_size 128
		.amdhsa_user_sgpr_count 2
		.amdhsa_user_sgpr_dispatch_ptr 0
		.amdhsa_user_sgpr_queue_ptr 0
		.amdhsa_user_sgpr_kernarg_segment_ptr 1
		.amdhsa_user_sgpr_dispatch_id 0
		.amdhsa_user_sgpr_kernarg_preload_length 0
		.amdhsa_user_sgpr_kernarg_preload_offset 0
		.amdhsa_user_sgpr_private_segment_size 0
		.amdhsa_uses_dynamic_stack 0
		.amdhsa_enable_private_segment 0
		.amdhsa_system_sgpr_workgroup_id_x 1
		.amdhsa_system_sgpr_workgroup_id_y 0
		.amdhsa_system_sgpr_workgroup_id_z 0
		.amdhsa_system_sgpr_workgroup_info 0
		.amdhsa_system_vgpr_workitem_id 0
		.amdhsa_next_free_vgpr 74
		.amdhsa_next_free_sgpr 47
		.amdhsa_accum_offset 76
		.amdhsa_reserve_vcc 1
		.amdhsa_float_round_mode_32 0
		.amdhsa_float_round_mode_16_64 0
		.amdhsa_float_denorm_mode_32 3
		.amdhsa_float_denorm_mode_16_64 3
		.amdhsa_dx10_clamp 1
		.amdhsa_ieee_mode 1
		.amdhsa_fp16_overflow 0
		.amdhsa_tg_split 0
		.amdhsa_exception_fp_ieee_invalid_op 0
		.amdhsa_exception_fp_denorm_src 0
		.amdhsa_exception_fp_ieee_div_zero 0
		.amdhsa_exception_fp_ieee_overflow 0
		.amdhsa_exception_fp_ieee_underflow 0
		.amdhsa_exception_fp_ieee_inexact 0
		.amdhsa_exception_int_div_zero 0
	.end_amdhsa_kernel
	.section	.text._ZN7rocprim17ROCPRIM_400000_NS6detail17trampoline_kernelINS0_14default_configENS1_25partition_config_selectorILNS1_17partition_subalgoE8EN6thrust23THRUST_200600_302600_NS5tupleIffNS7_9null_typeES9_S9_S9_S9_S9_S9_S9_EENS0_10empty_typeEbEEZZNS1_14partition_implILS5_8ELb0ES3_jNS7_6detail15normal_iteratorINS7_10device_ptrISA_EEEEPSB_PKSB_NS0_5tupleIJSI_SB_EEENSM_IJSJ_SJ_EEENS0_18inequality_wrapperINS7_8equal_toISA_EEEEPmJSB_EEE10hipError_tPvRmT3_T4_T5_T6_T7_T9_mT8_P12ihipStream_tbDpT10_ENKUlT_T0_E_clISt17integral_constantIbLb1EES1D_EEDaS18_S19_EUlS18_E_NS1_11comp_targetILNS1_3genE5ELNS1_11target_archE942ELNS1_3gpuE9ELNS1_3repE0EEENS1_30default_config_static_selectorELNS0_4arch9wavefront6targetE1EEEvT1_,"axG",@progbits,_ZN7rocprim17ROCPRIM_400000_NS6detail17trampoline_kernelINS0_14default_configENS1_25partition_config_selectorILNS1_17partition_subalgoE8EN6thrust23THRUST_200600_302600_NS5tupleIffNS7_9null_typeES9_S9_S9_S9_S9_S9_S9_EENS0_10empty_typeEbEEZZNS1_14partition_implILS5_8ELb0ES3_jNS7_6detail15normal_iteratorINS7_10device_ptrISA_EEEEPSB_PKSB_NS0_5tupleIJSI_SB_EEENSM_IJSJ_SJ_EEENS0_18inequality_wrapperINS7_8equal_toISA_EEEEPmJSB_EEE10hipError_tPvRmT3_T4_T5_T6_T7_T9_mT8_P12ihipStream_tbDpT10_ENKUlT_T0_E_clISt17integral_constantIbLb1EES1D_EEDaS18_S19_EUlS18_E_NS1_11comp_targetILNS1_3genE5ELNS1_11target_archE942ELNS1_3gpuE9ELNS1_3repE0EEENS1_30default_config_static_selectorELNS0_4arch9wavefront6targetE1EEEvT1_,comdat
.Lfunc_end112:
	.size	_ZN7rocprim17ROCPRIM_400000_NS6detail17trampoline_kernelINS0_14default_configENS1_25partition_config_selectorILNS1_17partition_subalgoE8EN6thrust23THRUST_200600_302600_NS5tupleIffNS7_9null_typeES9_S9_S9_S9_S9_S9_S9_EENS0_10empty_typeEbEEZZNS1_14partition_implILS5_8ELb0ES3_jNS7_6detail15normal_iteratorINS7_10device_ptrISA_EEEEPSB_PKSB_NS0_5tupleIJSI_SB_EEENSM_IJSJ_SJ_EEENS0_18inequality_wrapperINS7_8equal_toISA_EEEEPmJSB_EEE10hipError_tPvRmT3_T4_T5_T6_T7_T9_mT8_P12ihipStream_tbDpT10_ENKUlT_T0_E_clISt17integral_constantIbLb1EES1D_EEDaS18_S19_EUlS18_E_NS1_11comp_targetILNS1_3genE5ELNS1_11target_archE942ELNS1_3gpuE9ELNS1_3repE0EEENS1_30default_config_static_selectorELNS0_4arch9wavefront6targetE1EEEvT1_, .Lfunc_end112-_ZN7rocprim17ROCPRIM_400000_NS6detail17trampoline_kernelINS0_14default_configENS1_25partition_config_selectorILNS1_17partition_subalgoE8EN6thrust23THRUST_200600_302600_NS5tupleIffNS7_9null_typeES9_S9_S9_S9_S9_S9_S9_EENS0_10empty_typeEbEEZZNS1_14partition_implILS5_8ELb0ES3_jNS7_6detail15normal_iteratorINS7_10device_ptrISA_EEEEPSB_PKSB_NS0_5tupleIJSI_SB_EEENSM_IJSJ_SJ_EEENS0_18inequality_wrapperINS7_8equal_toISA_EEEEPmJSB_EEE10hipError_tPvRmT3_T4_T5_T6_T7_T9_mT8_P12ihipStream_tbDpT10_ENKUlT_T0_E_clISt17integral_constantIbLb1EES1D_EEDaS18_S19_EUlS18_E_NS1_11comp_targetILNS1_3genE5ELNS1_11target_archE942ELNS1_3gpuE9ELNS1_3repE0EEENS1_30default_config_static_selectorELNS0_4arch9wavefront6targetE1EEEvT1_
                                        ; -- End function
	.section	.AMDGPU.csdata,"",@progbits
; Kernel info:
; codeLenInByte = 6760
; NumSgprs: 53
; NumVgprs: 74
; NumAgprs: 0
; TotalNumVgprs: 74
; ScratchSize: 0
; MemoryBound: 0
; FloatMode: 240
; IeeeMode: 1
; LDSByteSize: 28680 bytes/workgroup (compile time only)
; SGPRBlocks: 6
; VGPRBlocks: 9
; NumSGPRsForWavesPerEU: 53
; NumVGPRsForWavesPerEU: 74
; AccumOffset: 76
; Occupancy: 4
; WaveLimiterHint : 1
; COMPUTE_PGM_RSRC2:SCRATCH_EN: 0
; COMPUTE_PGM_RSRC2:USER_SGPR: 2
; COMPUTE_PGM_RSRC2:TRAP_HANDLER: 0
; COMPUTE_PGM_RSRC2:TGID_X_EN: 1
; COMPUTE_PGM_RSRC2:TGID_Y_EN: 0
; COMPUTE_PGM_RSRC2:TGID_Z_EN: 0
; COMPUTE_PGM_RSRC2:TIDIG_COMP_CNT: 0
; COMPUTE_PGM_RSRC3_GFX90A:ACCUM_OFFSET: 18
; COMPUTE_PGM_RSRC3_GFX90A:TG_SPLIT: 0
	.section	.text._ZN7rocprim17ROCPRIM_400000_NS6detail17trampoline_kernelINS0_14default_configENS1_25partition_config_selectorILNS1_17partition_subalgoE8EN6thrust23THRUST_200600_302600_NS5tupleIffNS7_9null_typeES9_S9_S9_S9_S9_S9_S9_EENS0_10empty_typeEbEEZZNS1_14partition_implILS5_8ELb0ES3_jNS7_6detail15normal_iteratorINS7_10device_ptrISA_EEEEPSB_PKSB_NS0_5tupleIJSI_SB_EEENSM_IJSJ_SJ_EEENS0_18inequality_wrapperINS7_8equal_toISA_EEEEPmJSB_EEE10hipError_tPvRmT3_T4_T5_T6_T7_T9_mT8_P12ihipStream_tbDpT10_ENKUlT_T0_E_clISt17integral_constantIbLb1EES1D_EEDaS18_S19_EUlS18_E_NS1_11comp_targetILNS1_3genE4ELNS1_11target_archE910ELNS1_3gpuE8ELNS1_3repE0EEENS1_30default_config_static_selectorELNS0_4arch9wavefront6targetE1EEEvT1_,"axG",@progbits,_ZN7rocprim17ROCPRIM_400000_NS6detail17trampoline_kernelINS0_14default_configENS1_25partition_config_selectorILNS1_17partition_subalgoE8EN6thrust23THRUST_200600_302600_NS5tupleIffNS7_9null_typeES9_S9_S9_S9_S9_S9_S9_EENS0_10empty_typeEbEEZZNS1_14partition_implILS5_8ELb0ES3_jNS7_6detail15normal_iteratorINS7_10device_ptrISA_EEEEPSB_PKSB_NS0_5tupleIJSI_SB_EEENSM_IJSJ_SJ_EEENS0_18inequality_wrapperINS7_8equal_toISA_EEEEPmJSB_EEE10hipError_tPvRmT3_T4_T5_T6_T7_T9_mT8_P12ihipStream_tbDpT10_ENKUlT_T0_E_clISt17integral_constantIbLb1EES1D_EEDaS18_S19_EUlS18_E_NS1_11comp_targetILNS1_3genE4ELNS1_11target_archE910ELNS1_3gpuE8ELNS1_3repE0EEENS1_30default_config_static_selectorELNS0_4arch9wavefront6targetE1EEEvT1_,comdat
	.protected	_ZN7rocprim17ROCPRIM_400000_NS6detail17trampoline_kernelINS0_14default_configENS1_25partition_config_selectorILNS1_17partition_subalgoE8EN6thrust23THRUST_200600_302600_NS5tupleIffNS7_9null_typeES9_S9_S9_S9_S9_S9_S9_EENS0_10empty_typeEbEEZZNS1_14partition_implILS5_8ELb0ES3_jNS7_6detail15normal_iteratorINS7_10device_ptrISA_EEEEPSB_PKSB_NS0_5tupleIJSI_SB_EEENSM_IJSJ_SJ_EEENS0_18inequality_wrapperINS7_8equal_toISA_EEEEPmJSB_EEE10hipError_tPvRmT3_T4_T5_T6_T7_T9_mT8_P12ihipStream_tbDpT10_ENKUlT_T0_E_clISt17integral_constantIbLb1EES1D_EEDaS18_S19_EUlS18_E_NS1_11comp_targetILNS1_3genE4ELNS1_11target_archE910ELNS1_3gpuE8ELNS1_3repE0EEENS1_30default_config_static_selectorELNS0_4arch9wavefront6targetE1EEEvT1_ ; -- Begin function _ZN7rocprim17ROCPRIM_400000_NS6detail17trampoline_kernelINS0_14default_configENS1_25partition_config_selectorILNS1_17partition_subalgoE8EN6thrust23THRUST_200600_302600_NS5tupleIffNS7_9null_typeES9_S9_S9_S9_S9_S9_S9_EENS0_10empty_typeEbEEZZNS1_14partition_implILS5_8ELb0ES3_jNS7_6detail15normal_iteratorINS7_10device_ptrISA_EEEEPSB_PKSB_NS0_5tupleIJSI_SB_EEENSM_IJSJ_SJ_EEENS0_18inequality_wrapperINS7_8equal_toISA_EEEEPmJSB_EEE10hipError_tPvRmT3_T4_T5_T6_T7_T9_mT8_P12ihipStream_tbDpT10_ENKUlT_T0_E_clISt17integral_constantIbLb1EES1D_EEDaS18_S19_EUlS18_E_NS1_11comp_targetILNS1_3genE4ELNS1_11target_archE910ELNS1_3gpuE8ELNS1_3repE0EEENS1_30default_config_static_selectorELNS0_4arch9wavefront6targetE1EEEvT1_
	.globl	_ZN7rocprim17ROCPRIM_400000_NS6detail17trampoline_kernelINS0_14default_configENS1_25partition_config_selectorILNS1_17partition_subalgoE8EN6thrust23THRUST_200600_302600_NS5tupleIffNS7_9null_typeES9_S9_S9_S9_S9_S9_S9_EENS0_10empty_typeEbEEZZNS1_14partition_implILS5_8ELb0ES3_jNS7_6detail15normal_iteratorINS7_10device_ptrISA_EEEEPSB_PKSB_NS0_5tupleIJSI_SB_EEENSM_IJSJ_SJ_EEENS0_18inequality_wrapperINS7_8equal_toISA_EEEEPmJSB_EEE10hipError_tPvRmT3_T4_T5_T6_T7_T9_mT8_P12ihipStream_tbDpT10_ENKUlT_T0_E_clISt17integral_constantIbLb1EES1D_EEDaS18_S19_EUlS18_E_NS1_11comp_targetILNS1_3genE4ELNS1_11target_archE910ELNS1_3gpuE8ELNS1_3repE0EEENS1_30default_config_static_selectorELNS0_4arch9wavefront6targetE1EEEvT1_
	.p2align	8
	.type	_ZN7rocprim17ROCPRIM_400000_NS6detail17trampoline_kernelINS0_14default_configENS1_25partition_config_selectorILNS1_17partition_subalgoE8EN6thrust23THRUST_200600_302600_NS5tupleIffNS7_9null_typeES9_S9_S9_S9_S9_S9_S9_EENS0_10empty_typeEbEEZZNS1_14partition_implILS5_8ELb0ES3_jNS7_6detail15normal_iteratorINS7_10device_ptrISA_EEEEPSB_PKSB_NS0_5tupleIJSI_SB_EEENSM_IJSJ_SJ_EEENS0_18inequality_wrapperINS7_8equal_toISA_EEEEPmJSB_EEE10hipError_tPvRmT3_T4_T5_T6_T7_T9_mT8_P12ihipStream_tbDpT10_ENKUlT_T0_E_clISt17integral_constantIbLb1EES1D_EEDaS18_S19_EUlS18_E_NS1_11comp_targetILNS1_3genE4ELNS1_11target_archE910ELNS1_3gpuE8ELNS1_3repE0EEENS1_30default_config_static_selectorELNS0_4arch9wavefront6targetE1EEEvT1_,@function
_ZN7rocprim17ROCPRIM_400000_NS6detail17trampoline_kernelINS0_14default_configENS1_25partition_config_selectorILNS1_17partition_subalgoE8EN6thrust23THRUST_200600_302600_NS5tupleIffNS7_9null_typeES9_S9_S9_S9_S9_S9_S9_EENS0_10empty_typeEbEEZZNS1_14partition_implILS5_8ELb0ES3_jNS7_6detail15normal_iteratorINS7_10device_ptrISA_EEEEPSB_PKSB_NS0_5tupleIJSI_SB_EEENSM_IJSJ_SJ_EEENS0_18inequality_wrapperINS7_8equal_toISA_EEEEPmJSB_EEE10hipError_tPvRmT3_T4_T5_T6_T7_T9_mT8_P12ihipStream_tbDpT10_ENKUlT_T0_E_clISt17integral_constantIbLb1EES1D_EEDaS18_S19_EUlS18_E_NS1_11comp_targetILNS1_3genE4ELNS1_11target_archE910ELNS1_3gpuE8ELNS1_3repE0EEENS1_30default_config_static_selectorELNS0_4arch9wavefront6targetE1EEEvT1_: ; @_ZN7rocprim17ROCPRIM_400000_NS6detail17trampoline_kernelINS0_14default_configENS1_25partition_config_selectorILNS1_17partition_subalgoE8EN6thrust23THRUST_200600_302600_NS5tupleIffNS7_9null_typeES9_S9_S9_S9_S9_S9_S9_EENS0_10empty_typeEbEEZZNS1_14partition_implILS5_8ELb0ES3_jNS7_6detail15normal_iteratorINS7_10device_ptrISA_EEEEPSB_PKSB_NS0_5tupleIJSI_SB_EEENSM_IJSJ_SJ_EEENS0_18inequality_wrapperINS7_8equal_toISA_EEEEPmJSB_EEE10hipError_tPvRmT3_T4_T5_T6_T7_T9_mT8_P12ihipStream_tbDpT10_ENKUlT_T0_E_clISt17integral_constantIbLb1EES1D_EEDaS18_S19_EUlS18_E_NS1_11comp_targetILNS1_3genE4ELNS1_11target_archE910ELNS1_3gpuE8ELNS1_3repE0EEENS1_30default_config_static_selectorELNS0_4arch9wavefront6targetE1EEEvT1_
; %bb.0:
	.section	.rodata,"a",@progbits
	.p2align	6, 0x0
	.amdhsa_kernel _ZN7rocprim17ROCPRIM_400000_NS6detail17trampoline_kernelINS0_14default_configENS1_25partition_config_selectorILNS1_17partition_subalgoE8EN6thrust23THRUST_200600_302600_NS5tupleIffNS7_9null_typeES9_S9_S9_S9_S9_S9_S9_EENS0_10empty_typeEbEEZZNS1_14partition_implILS5_8ELb0ES3_jNS7_6detail15normal_iteratorINS7_10device_ptrISA_EEEEPSB_PKSB_NS0_5tupleIJSI_SB_EEENSM_IJSJ_SJ_EEENS0_18inequality_wrapperINS7_8equal_toISA_EEEEPmJSB_EEE10hipError_tPvRmT3_T4_T5_T6_T7_T9_mT8_P12ihipStream_tbDpT10_ENKUlT_T0_E_clISt17integral_constantIbLb1EES1D_EEDaS18_S19_EUlS18_E_NS1_11comp_targetILNS1_3genE4ELNS1_11target_archE910ELNS1_3gpuE8ELNS1_3repE0EEENS1_30default_config_static_selectorELNS0_4arch9wavefront6targetE1EEEvT1_
		.amdhsa_group_segment_fixed_size 0
		.amdhsa_private_segment_fixed_size 0
		.amdhsa_kernarg_size 128
		.amdhsa_user_sgpr_count 2
		.amdhsa_user_sgpr_dispatch_ptr 0
		.amdhsa_user_sgpr_queue_ptr 0
		.amdhsa_user_sgpr_kernarg_segment_ptr 1
		.amdhsa_user_sgpr_dispatch_id 0
		.amdhsa_user_sgpr_kernarg_preload_length 0
		.amdhsa_user_sgpr_kernarg_preload_offset 0
		.amdhsa_user_sgpr_private_segment_size 0
		.amdhsa_uses_dynamic_stack 0
		.amdhsa_enable_private_segment 0
		.amdhsa_system_sgpr_workgroup_id_x 1
		.amdhsa_system_sgpr_workgroup_id_y 0
		.amdhsa_system_sgpr_workgroup_id_z 0
		.amdhsa_system_sgpr_workgroup_info 0
		.amdhsa_system_vgpr_workitem_id 0
		.amdhsa_next_free_vgpr 1
		.amdhsa_next_free_sgpr 0
		.amdhsa_accum_offset 4
		.amdhsa_reserve_vcc 0
		.amdhsa_float_round_mode_32 0
		.amdhsa_float_round_mode_16_64 0
		.amdhsa_float_denorm_mode_32 3
		.amdhsa_float_denorm_mode_16_64 3
		.amdhsa_dx10_clamp 1
		.amdhsa_ieee_mode 1
		.amdhsa_fp16_overflow 0
		.amdhsa_tg_split 0
		.amdhsa_exception_fp_ieee_invalid_op 0
		.amdhsa_exception_fp_denorm_src 0
		.amdhsa_exception_fp_ieee_div_zero 0
		.amdhsa_exception_fp_ieee_overflow 0
		.amdhsa_exception_fp_ieee_underflow 0
		.amdhsa_exception_fp_ieee_inexact 0
		.amdhsa_exception_int_div_zero 0
	.end_amdhsa_kernel
	.section	.text._ZN7rocprim17ROCPRIM_400000_NS6detail17trampoline_kernelINS0_14default_configENS1_25partition_config_selectorILNS1_17partition_subalgoE8EN6thrust23THRUST_200600_302600_NS5tupleIffNS7_9null_typeES9_S9_S9_S9_S9_S9_S9_EENS0_10empty_typeEbEEZZNS1_14partition_implILS5_8ELb0ES3_jNS7_6detail15normal_iteratorINS7_10device_ptrISA_EEEEPSB_PKSB_NS0_5tupleIJSI_SB_EEENSM_IJSJ_SJ_EEENS0_18inequality_wrapperINS7_8equal_toISA_EEEEPmJSB_EEE10hipError_tPvRmT3_T4_T5_T6_T7_T9_mT8_P12ihipStream_tbDpT10_ENKUlT_T0_E_clISt17integral_constantIbLb1EES1D_EEDaS18_S19_EUlS18_E_NS1_11comp_targetILNS1_3genE4ELNS1_11target_archE910ELNS1_3gpuE8ELNS1_3repE0EEENS1_30default_config_static_selectorELNS0_4arch9wavefront6targetE1EEEvT1_,"axG",@progbits,_ZN7rocprim17ROCPRIM_400000_NS6detail17trampoline_kernelINS0_14default_configENS1_25partition_config_selectorILNS1_17partition_subalgoE8EN6thrust23THRUST_200600_302600_NS5tupleIffNS7_9null_typeES9_S9_S9_S9_S9_S9_S9_EENS0_10empty_typeEbEEZZNS1_14partition_implILS5_8ELb0ES3_jNS7_6detail15normal_iteratorINS7_10device_ptrISA_EEEEPSB_PKSB_NS0_5tupleIJSI_SB_EEENSM_IJSJ_SJ_EEENS0_18inequality_wrapperINS7_8equal_toISA_EEEEPmJSB_EEE10hipError_tPvRmT3_T4_T5_T6_T7_T9_mT8_P12ihipStream_tbDpT10_ENKUlT_T0_E_clISt17integral_constantIbLb1EES1D_EEDaS18_S19_EUlS18_E_NS1_11comp_targetILNS1_3genE4ELNS1_11target_archE910ELNS1_3gpuE8ELNS1_3repE0EEENS1_30default_config_static_selectorELNS0_4arch9wavefront6targetE1EEEvT1_,comdat
.Lfunc_end113:
	.size	_ZN7rocprim17ROCPRIM_400000_NS6detail17trampoline_kernelINS0_14default_configENS1_25partition_config_selectorILNS1_17partition_subalgoE8EN6thrust23THRUST_200600_302600_NS5tupleIffNS7_9null_typeES9_S9_S9_S9_S9_S9_S9_EENS0_10empty_typeEbEEZZNS1_14partition_implILS5_8ELb0ES3_jNS7_6detail15normal_iteratorINS7_10device_ptrISA_EEEEPSB_PKSB_NS0_5tupleIJSI_SB_EEENSM_IJSJ_SJ_EEENS0_18inequality_wrapperINS7_8equal_toISA_EEEEPmJSB_EEE10hipError_tPvRmT3_T4_T5_T6_T7_T9_mT8_P12ihipStream_tbDpT10_ENKUlT_T0_E_clISt17integral_constantIbLb1EES1D_EEDaS18_S19_EUlS18_E_NS1_11comp_targetILNS1_3genE4ELNS1_11target_archE910ELNS1_3gpuE8ELNS1_3repE0EEENS1_30default_config_static_selectorELNS0_4arch9wavefront6targetE1EEEvT1_, .Lfunc_end113-_ZN7rocprim17ROCPRIM_400000_NS6detail17trampoline_kernelINS0_14default_configENS1_25partition_config_selectorILNS1_17partition_subalgoE8EN6thrust23THRUST_200600_302600_NS5tupleIffNS7_9null_typeES9_S9_S9_S9_S9_S9_S9_EENS0_10empty_typeEbEEZZNS1_14partition_implILS5_8ELb0ES3_jNS7_6detail15normal_iteratorINS7_10device_ptrISA_EEEEPSB_PKSB_NS0_5tupleIJSI_SB_EEENSM_IJSJ_SJ_EEENS0_18inequality_wrapperINS7_8equal_toISA_EEEEPmJSB_EEE10hipError_tPvRmT3_T4_T5_T6_T7_T9_mT8_P12ihipStream_tbDpT10_ENKUlT_T0_E_clISt17integral_constantIbLb1EES1D_EEDaS18_S19_EUlS18_E_NS1_11comp_targetILNS1_3genE4ELNS1_11target_archE910ELNS1_3gpuE8ELNS1_3repE0EEENS1_30default_config_static_selectorELNS0_4arch9wavefront6targetE1EEEvT1_
                                        ; -- End function
	.section	.AMDGPU.csdata,"",@progbits
; Kernel info:
; codeLenInByte = 0
; NumSgprs: 6
; NumVgprs: 0
; NumAgprs: 0
; TotalNumVgprs: 0
; ScratchSize: 0
; MemoryBound: 0
; FloatMode: 240
; IeeeMode: 1
; LDSByteSize: 0 bytes/workgroup (compile time only)
; SGPRBlocks: 0
; VGPRBlocks: 0
; NumSGPRsForWavesPerEU: 6
; NumVGPRsForWavesPerEU: 1
; AccumOffset: 4
; Occupancy: 8
; WaveLimiterHint : 0
; COMPUTE_PGM_RSRC2:SCRATCH_EN: 0
; COMPUTE_PGM_RSRC2:USER_SGPR: 2
; COMPUTE_PGM_RSRC2:TRAP_HANDLER: 0
; COMPUTE_PGM_RSRC2:TGID_X_EN: 1
; COMPUTE_PGM_RSRC2:TGID_Y_EN: 0
; COMPUTE_PGM_RSRC2:TGID_Z_EN: 0
; COMPUTE_PGM_RSRC2:TIDIG_COMP_CNT: 0
; COMPUTE_PGM_RSRC3_GFX90A:ACCUM_OFFSET: 0
; COMPUTE_PGM_RSRC3_GFX90A:TG_SPLIT: 0
	.section	.text._ZN7rocprim17ROCPRIM_400000_NS6detail17trampoline_kernelINS0_14default_configENS1_25partition_config_selectorILNS1_17partition_subalgoE8EN6thrust23THRUST_200600_302600_NS5tupleIffNS7_9null_typeES9_S9_S9_S9_S9_S9_S9_EENS0_10empty_typeEbEEZZNS1_14partition_implILS5_8ELb0ES3_jNS7_6detail15normal_iteratorINS7_10device_ptrISA_EEEEPSB_PKSB_NS0_5tupleIJSI_SB_EEENSM_IJSJ_SJ_EEENS0_18inequality_wrapperINS7_8equal_toISA_EEEEPmJSB_EEE10hipError_tPvRmT3_T4_T5_T6_T7_T9_mT8_P12ihipStream_tbDpT10_ENKUlT_T0_E_clISt17integral_constantIbLb1EES1D_EEDaS18_S19_EUlS18_E_NS1_11comp_targetILNS1_3genE3ELNS1_11target_archE908ELNS1_3gpuE7ELNS1_3repE0EEENS1_30default_config_static_selectorELNS0_4arch9wavefront6targetE1EEEvT1_,"axG",@progbits,_ZN7rocprim17ROCPRIM_400000_NS6detail17trampoline_kernelINS0_14default_configENS1_25partition_config_selectorILNS1_17partition_subalgoE8EN6thrust23THRUST_200600_302600_NS5tupleIffNS7_9null_typeES9_S9_S9_S9_S9_S9_S9_EENS0_10empty_typeEbEEZZNS1_14partition_implILS5_8ELb0ES3_jNS7_6detail15normal_iteratorINS7_10device_ptrISA_EEEEPSB_PKSB_NS0_5tupleIJSI_SB_EEENSM_IJSJ_SJ_EEENS0_18inequality_wrapperINS7_8equal_toISA_EEEEPmJSB_EEE10hipError_tPvRmT3_T4_T5_T6_T7_T9_mT8_P12ihipStream_tbDpT10_ENKUlT_T0_E_clISt17integral_constantIbLb1EES1D_EEDaS18_S19_EUlS18_E_NS1_11comp_targetILNS1_3genE3ELNS1_11target_archE908ELNS1_3gpuE7ELNS1_3repE0EEENS1_30default_config_static_selectorELNS0_4arch9wavefront6targetE1EEEvT1_,comdat
	.protected	_ZN7rocprim17ROCPRIM_400000_NS6detail17trampoline_kernelINS0_14default_configENS1_25partition_config_selectorILNS1_17partition_subalgoE8EN6thrust23THRUST_200600_302600_NS5tupleIffNS7_9null_typeES9_S9_S9_S9_S9_S9_S9_EENS0_10empty_typeEbEEZZNS1_14partition_implILS5_8ELb0ES3_jNS7_6detail15normal_iteratorINS7_10device_ptrISA_EEEEPSB_PKSB_NS0_5tupleIJSI_SB_EEENSM_IJSJ_SJ_EEENS0_18inequality_wrapperINS7_8equal_toISA_EEEEPmJSB_EEE10hipError_tPvRmT3_T4_T5_T6_T7_T9_mT8_P12ihipStream_tbDpT10_ENKUlT_T0_E_clISt17integral_constantIbLb1EES1D_EEDaS18_S19_EUlS18_E_NS1_11comp_targetILNS1_3genE3ELNS1_11target_archE908ELNS1_3gpuE7ELNS1_3repE0EEENS1_30default_config_static_selectorELNS0_4arch9wavefront6targetE1EEEvT1_ ; -- Begin function _ZN7rocprim17ROCPRIM_400000_NS6detail17trampoline_kernelINS0_14default_configENS1_25partition_config_selectorILNS1_17partition_subalgoE8EN6thrust23THRUST_200600_302600_NS5tupleIffNS7_9null_typeES9_S9_S9_S9_S9_S9_S9_EENS0_10empty_typeEbEEZZNS1_14partition_implILS5_8ELb0ES3_jNS7_6detail15normal_iteratorINS7_10device_ptrISA_EEEEPSB_PKSB_NS0_5tupleIJSI_SB_EEENSM_IJSJ_SJ_EEENS0_18inequality_wrapperINS7_8equal_toISA_EEEEPmJSB_EEE10hipError_tPvRmT3_T4_T5_T6_T7_T9_mT8_P12ihipStream_tbDpT10_ENKUlT_T0_E_clISt17integral_constantIbLb1EES1D_EEDaS18_S19_EUlS18_E_NS1_11comp_targetILNS1_3genE3ELNS1_11target_archE908ELNS1_3gpuE7ELNS1_3repE0EEENS1_30default_config_static_selectorELNS0_4arch9wavefront6targetE1EEEvT1_
	.globl	_ZN7rocprim17ROCPRIM_400000_NS6detail17trampoline_kernelINS0_14default_configENS1_25partition_config_selectorILNS1_17partition_subalgoE8EN6thrust23THRUST_200600_302600_NS5tupleIffNS7_9null_typeES9_S9_S9_S9_S9_S9_S9_EENS0_10empty_typeEbEEZZNS1_14partition_implILS5_8ELb0ES3_jNS7_6detail15normal_iteratorINS7_10device_ptrISA_EEEEPSB_PKSB_NS0_5tupleIJSI_SB_EEENSM_IJSJ_SJ_EEENS0_18inequality_wrapperINS7_8equal_toISA_EEEEPmJSB_EEE10hipError_tPvRmT3_T4_T5_T6_T7_T9_mT8_P12ihipStream_tbDpT10_ENKUlT_T0_E_clISt17integral_constantIbLb1EES1D_EEDaS18_S19_EUlS18_E_NS1_11comp_targetILNS1_3genE3ELNS1_11target_archE908ELNS1_3gpuE7ELNS1_3repE0EEENS1_30default_config_static_selectorELNS0_4arch9wavefront6targetE1EEEvT1_
	.p2align	8
	.type	_ZN7rocprim17ROCPRIM_400000_NS6detail17trampoline_kernelINS0_14default_configENS1_25partition_config_selectorILNS1_17partition_subalgoE8EN6thrust23THRUST_200600_302600_NS5tupleIffNS7_9null_typeES9_S9_S9_S9_S9_S9_S9_EENS0_10empty_typeEbEEZZNS1_14partition_implILS5_8ELb0ES3_jNS7_6detail15normal_iteratorINS7_10device_ptrISA_EEEEPSB_PKSB_NS0_5tupleIJSI_SB_EEENSM_IJSJ_SJ_EEENS0_18inequality_wrapperINS7_8equal_toISA_EEEEPmJSB_EEE10hipError_tPvRmT3_T4_T5_T6_T7_T9_mT8_P12ihipStream_tbDpT10_ENKUlT_T0_E_clISt17integral_constantIbLb1EES1D_EEDaS18_S19_EUlS18_E_NS1_11comp_targetILNS1_3genE3ELNS1_11target_archE908ELNS1_3gpuE7ELNS1_3repE0EEENS1_30default_config_static_selectorELNS0_4arch9wavefront6targetE1EEEvT1_,@function
_ZN7rocprim17ROCPRIM_400000_NS6detail17trampoline_kernelINS0_14default_configENS1_25partition_config_selectorILNS1_17partition_subalgoE8EN6thrust23THRUST_200600_302600_NS5tupleIffNS7_9null_typeES9_S9_S9_S9_S9_S9_S9_EENS0_10empty_typeEbEEZZNS1_14partition_implILS5_8ELb0ES3_jNS7_6detail15normal_iteratorINS7_10device_ptrISA_EEEEPSB_PKSB_NS0_5tupleIJSI_SB_EEENSM_IJSJ_SJ_EEENS0_18inequality_wrapperINS7_8equal_toISA_EEEEPmJSB_EEE10hipError_tPvRmT3_T4_T5_T6_T7_T9_mT8_P12ihipStream_tbDpT10_ENKUlT_T0_E_clISt17integral_constantIbLb1EES1D_EEDaS18_S19_EUlS18_E_NS1_11comp_targetILNS1_3genE3ELNS1_11target_archE908ELNS1_3gpuE7ELNS1_3repE0EEENS1_30default_config_static_selectorELNS0_4arch9wavefront6targetE1EEEvT1_: ; @_ZN7rocprim17ROCPRIM_400000_NS6detail17trampoline_kernelINS0_14default_configENS1_25partition_config_selectorILNS1_17partition_subalgoE8EN6thrust23THRUST_200600_302600_NS5tupleIffNS7_9null_typeES9_S9_S9_S9_S9_S9_S9_EENS0_10empty_typeEbEEZZNS1_14partition_implILS5_8ELb0ES3_jNS7_6detail15normal_iteratorINS7_10device_ptrISA_EEEEPSB_PKSB_NS0_5tupleIJSI_SB_EEENSM_IJSJ_SJ_EEENS0_18inequality_wrapperINS7_8equal_toISA_EEEEPmJSB_EEE10hipError_tPvRmT3_T4_T5_T6_T7_T9_mT8_P12ihipStream_tbDpT10_ENKUlT_T0_E_clISt17integral_constantIbLb1EES1D_EEDaS18_S19_EUlS18_E_NS1_11comp_targetILNS1_3genE3ELNS1_11target_archE908ELNS1_3gpuE7ELNS1_3repE0EEENS1_30default_config_static_selectorELNS0_4arch9wavefront6targetE1EEEvT1_
; %bb.0:
	.section	.rodata,"a",@progbits
	.p2align	6, 0x0
	.amdhsa_kernel _ZN7rocprim17ROCPRIM_400000_NS6detail17trampoline_kernelINS0_14default_configENS1_25partition_config_selectorILNS1_17partition_subalgoE8EN6thrust23THRUST_200600_302600_NS5tupleIffNS7_9null_typeES9_S9_S9_S9_S9_S9_S9_EENS0_10empty_typeEbEEZZNS1_14partition_implILS5_8ELb0ES3_jNS7_6detail15normal_iteratorINS7_10device_ptrISA_EEEEPSB_PKSB_NS0_5tupleIJSI_SB_EEENSM_IJSJ_SJ_EEENS0_18inequality_wrapperINS7_8equal_toISA_EEEEPmJSB_EEE10hipError_tPvRmT3_T4_T5_T6_T7_T9_mT8_P12ihipStream_tbDpT10_ENKUlT_T0_E_clISt17integral_constantIbLb1EES1D_EEDaS18_S19_EUlS18_E_NS1_11comp_targetILNS1_3genE3ELNS1_11target_archE908ELNS1_3gpuE7ELNS1_3repE0EEENS1_30default_config_static_selectorELNS0_4arch9wavefront6targetE1EEEvT1_
		.amdhsa_group_segment_fixed_size 0
		.amdhsa_private_segment_fixed_size 0
		.amdhsa_kernarg_size 128
		.amdhsa_user_sgpr_count 2
		.amdhsa_user_sgpr_dispatch_ptr 0
		.amdhsa_user_sgpr_queue_ptr 0
		.amdhsa_user_sgpr_kernarg_segment_ptr 1
		.amdhsa_user_sgpr_dispatch_id 0
		.amdhsa_user_sgpr_kernarg_preload_length 0
		.amdhsa_user_sgpr_kernarg_preload_offset 0
		.amdhsa_user_sgpr_private_segment_size 0
		.amdhsa_uses_dynamic_stack 0
		.amdhsa_enable_private_segment 0
		.amdhsa_system_sgpr_workgroup_id_x 1
		.amdhsa_system_sgpr_workgroup_id_y 0
		.amdhsa_system_sgpr_workgroup_id_z 0
		.amdhsa_system_sgpr_workgroup_info 0
		.amdhsa_system_vgpr_workitem_id 0
		.amdhsa_next_free_vgpr 1
		.amdhsa_next_free_sgpr 0
		.amdhsa_accum_offset 4
		.amdhsa_reserve_vcc 0
		.amdhsa_float_round_mode_32 0
		.amdhsa_float_round_mode_16_64 0
		.amdhsa_float_denorm_mode_32 3
		.amdhsa_float_denorm_mode_16_64 3
		.amdhsa_dx10_clamp 1
		.amdhsa_ieee_mode 1
		.amdhsa_fp16_overflow 0
		.amdhsa_tg_split 0
		.amdhsa_exception_fp_ieee_invalid_op 0
		.amdhsa_exception_fp_denorm_src 0
		.amdhsa_exception_fp_ieee_div_zero 0
		.amdhsa_exception_fp_ieee_overflow 0
		.amdhsa_exception_fp_ieee_underflow 0
		.amdhsa_exception_fp_ieee_inexact 0
		.amdhsa_exception_int_div_zero 0
	.end_amdhsa_kernel
	.section	.text._ZN7rocprim17ROCPRIM_400000_NS6detail17trampoline_kernelINS0_14default_configENS1_25partition_config_selectorILNS1_17partition_subalgoE8EN6thrust23THRUST_200600_302600_NS5tupleIffNS7_9null_typeES9_S9_S9_S9_S9_S9_S9_EENS0_10empty_typeEbEEZZNS1_14partition_implILS5_8ELb0ES3_jNS7_6detail15normal_iteratorINS7_10device_ptrISA_EEEEPSB_PKSB_NS0_5tupleIJSI_SB_EEENSM_IJSJ_SJ_EEENS0_18inequality_wrapperINS7_8equal_toISA_EEEEPmJSB_EEE10hipError_tPvRmT3_T4_T5_T6_T7_T9_mT8_P12ihipStream_tbDpT10_ENKUlT_T0_E_clISt17integral_constantIbLb1EES1D_EEDaS18_S19_EUlS18_E_NS1_11comp_targetILNS1_3genE3ELNS1_11target_archE908ELNS1_3gpuE7ELNS1_3repE0EEENS1_30default_config_static_selectorELNS0_4arch9wavefront6targetE1EEEvT1_,"axG",@progbits,_ZN7rocprim17ROCPRIM_400000_NS6detail17trampoline_kernelINS0_14default_configENS1_25partition_config_selectorILNS1_17partition_subalgoE8EN6thrust23THRUST_200600_302600_NS5tupleIffNS7_9null_typeES9_S9_S9_S9_S9_S9_S9_EENS0_10empty_typeEbEEZZNS1_14partition_implILS5_8ELb0ES3_jNS7_6detail15normal_iteratorINS7_10device_ptrISA_EEEEPSB_PKSB_NS0_5tupleIJSI_SB_EEENSM_IJSJ_SJ_EEENS0_18inequality_wrapperINS7_8equal_toISA_EEEEPmJSB_EEE10hipError_tPvRmT3_T4_T5_T6_T7_T9_mT8_P12ihipStream_tbDpT10_ENKUlT_T0_E_clISt17integral_constantIbLb1EES1D_EEDaS18_S19_EUlS18_E_NS1_11comp_targetILNS1_3genE3ELNS1_11target_archE908ELNS1_3gpuE7ELNS1_3repE0EEENS1_30default_config_static_selectorELNS0_4arch9wavefront6targetE1EEEvT1_,comdat
.Lfunc_end114:
	.size	_ZN7rocprim17ROCPRIM_400000_NS6detail17trampoline_kernelINS0_14default_configENS1_25partition_config_selectorILNS1_17partition_subalgoE8EN6thrust23THRUST_200600_302600_NS5tupleIffNS7_9null_typeES9_S9_S9_S9_S9_S9_S9_EENS0_10empty_typeEbEEZZNS1_14partition_implILS5_8ELb0ES3_jNS7_6detail15normal_iteratorINS7_10device_ptrISA_EEEEPSB_PKSB_NS0_5tupleIJSI_SB_EEENSM_IJSJ_SJ_EEENS0_18inequality_wrapperINS7_8equal_toISA_EEEEPmJSB_EEE10hipError_tPvRmT3_T4_T5_T6_T7_T9_mT8_P12ihipStream_tbDpT10_ENKUlT_T0_E_clISt17integral_constantIbLb1EES1D_EEDaS18_S19_EUlS18_E_NS1_11comp_targetILNS1_3genE3ELNS1_11target_archE908ELNS1_3gpuE7ELNS1_3repE0EEENS1_30default_config_static_selectorELNS0_4arch9wavefront6targetE1EEEvT1_, .Lfunc_end114-_ZN7rocprim17ROCPRIM_400000_NS6detail17trampoline_kernelINS0_14default_configENS1_25partition_config_selectorILNS1_17partition_subalgoE8EN6thrust23THRUST_200600_302600_NS5tupleIffNS7_9null_typeES9_S9_S9_S9_S9_S9_S9_EENS0_10empty_typeEbEEZZNS1_14partition_implILS5_8ELb0ES3_jNS7_6detail15normal_iteratorINS7_10device_ptrISA_EEEEPSB_PKSB_NS0_5tupleIJSI_SB_EEENSM_IJSJ_SJ_EEENS0_18inequality_wrapperINS7_8equal_toISA_EEEEPmJSB_EEE10hipError_tPvRmT3_T4_T5_T6_T7_T9_mT8_P12ihipStream_tbDpT10_ENKUlT_T0_E_clISt17integral_constantIbLb1EES1D_EEDaS18_S19_EUlS18_E_NS1_11comp_targetILNS1_3genE3ELNS1_11target_archE908ELNS1_3gpuE7ELNS1_3repE0EEENS1_30default_config_static_selectorELNS0_4arch9wavefront6targetE1EEEvT1_
                                        ; -- End function
	.section	.AMDGPU.csdata,"",@progbits
; Kernel info:
; codeLenInByte = 0
; NumSgprs: 6
; NumVgprs: 0
; NumAgprs: 0
; TotalNumVgprs: 0
; ScratchSize: 0
; MemoryBound: 0
; FloatMode: 240
; IeeeMode: 1
; LDSByteSize: 0 bytes/workgroup (compile time only)
; SGPRBlocks: 0
; VGPRBlocks: 0
; NumSGPRsForWavesPerEU: 6
; NumVGPRsForWavesPerEU: 1
; AccumOffset: 4
; Occupancy: 8
; WaveLimiterHint : 0
; COMPUTE_PGM_RSRC2:SCRATCH_EN: 0
; COMPUTE_PGM_RSRC2:USER_SGPR: 2
; COMPUTE_PGM_RSRC2:TRAP_HANDLER: 0
; COMPUTE_PGM_RSRC2:TGID_X_EN: 1
; COMPUTE_PGM_RSRC2:TGID_Y_EN: 0
; COMPUTE_PGM_RSRC2:TGID_Z_EN: 0
; COMPUTE_PGM_RSRC2:TIDIG_COMP_CNT: 0
; COMPUTE_PGM_RSRC3_GFX90A:ACCUM_OFFSET: 0
; COMPUTE_PGM_RSRC3_GFX90A:TG_SPLIT: 0
	.section	.text._ZN7rocprim17ROCPRIM_400000_NS6detail17trampoline_kernelINS0_14default_configENS1_25partition_config_selectorILNS1_17partition_subalgoE8EN6thrust23THRUST_200600_302600_NS5tupleIffNS7_9null_typeES9_S9_S9_S9_S9_S9_S9_EENS0_10empty_typeEbEEZZNS1_14partition_implILS5_8ELb0ES3_jNS7_6detail15normal_iteratorINS7_10device_ptrISA_EEEEPSB_PKSB_NS0_5tupleIJSI_SB_EEENSM_IJSJ_SJ_EEENS0_18inequality_wrapperINS7_8equal_toISA_EEEEPmJSB_EEE10hipError_tPvRmT3_T4_T5_T6_T7_T9_mT8_P12ihipStream_tbDpT10_ENKUlT_T0_E_clISt17integral_constantIbLb1EES1D_EEDaS18_S19_EUlS18_E_NS1_11comp_targetILNS1_3genE2ELNS1_11target_archE906ELNS1_3gpuE6ELNS1_3repE0EEENS1_30default_config_static_selectorELNS0_4arch9wavefront6targetE1EEEvT1_,"axG",@progbits,_ZN7rocprim17ROCPRIM_400000_NS6detail17trampoline_kernelINS0_14default_configENS1_25partition_config_selectorILNS1_17partition_subalgoE8EN6thrust23THRUST_200600_302600_NS5tupleIffNS7_9null_typeES9_S9_S9_S9_S9_S9_S9_EENS0_10empty_typeEbEEZZNS1_14partition_implILS5_8ELb0ES3_jNS7_6detail15normal_iteratorINS7_10device_ptrISA_EEEEPSB_PKSB_NS0_5tupleIJSI_SB_EEENSM_IJSJ_SJ_EEENS0_18inequality_wrapperINS7_8equal_toISA_EEEEPmJSB_EEE10hipError_tPvRmT3_T4_T5_T6_T7_T9_mT8_P12ihipStream_tbDpT10_ENKUlT_T0_E_clISt17integral_constantIbLb1EES1D_EEDaS18_S19_EUlS18_E_NS1_11comp_targetILNS1_3genE2ELNS1_11target_archE906ELNS1_3gpuE6ELNS1_3repE0EEENS1_30default_config_static_selectorELNS0_4arch9wavefront6targetE1EEEvT1_,comdat
	.protected	_ZN7rocprim17ROCPRIM_400000_NS6detail17trampoline_kernelINS0_14default_configENS1_25partition_config_selectorILNS1_17partition_subalgoE8EN6thrust23THRUST_200600_302600_NS5tupleIffNS7_9null_typeES9_S9_S9_S9_S9_S9_S9_EENS0_10empty_typeEbEEZZNS1_14partition_implILS5_8ELb0ES3_jNS7_6detail15normal_iteratorINS7_10device_ptrISA_EEEEPSB_PKSB_NS0_5tupleIJSI_SB_EEENSM_IJSJ_SJ_EEENS0_18inequality_wrapperINS7_8equal_toISA_EEEEPmJSB_EEE10hipError_tPvRmT3_T4_T5_T6_T7_T9_mT8_P12ihipStream_tbDpT10_ENKUlT_T0_E_clISt17integral_constantIbLb1EES1D_EEDaS18_S19_EUlS18_E_NS1_11comp_targetILNS1_3genE2ELNS1_11target_archE906ELNS1_3gpuE6ELNS1_3repE0EEENS1_30default_config_static_selectorELNS0_4arch9wavefront6targetE1EEEvT1_ ; -- Begin function _ZN7rocprim17ROCPRIM_400000_NS6detail17trampoline_kernelINS0_14default_configENS1_25partition_config_selectorILNS1_17partition_subalgoE8EN6thrust23THRUST_200600_302600_NS5tupleIffNS7_9null_typeES9_S9_S9_S9_S9_S9_S9_EENS0_10empty_typeEbEEZZNS1_14partition_implILS5_8ELb0ES3_jNS7_6detail15normal_iteratorINS7_10device_ptrISA_EEEEPSB_PKSB_NS0_5tupleIJSI_SB_EEENSM_IJSJ_SJ_EEENS0_18inequality_wrapperINS7_8equal_toISA_EEEEPmJSB_EEE10hipError_tPvRmT3_T4_T5_T6_T7_T9_mT8_P12ihipStream_tbDpT10_ENKUlT_T0_E_clISt17integral_constantIbLb1EES1D_EEDaS18_S19_EUlS18_E_NS1_11comp_targetILNS1_3genE2ELNS1_11target_archE906ELNS1_3gpuE6ELNS1_3repE0EEENS1_30default_config_static_selectorELNS0_4arch9wavefront6targetE1EEEvT1_
	.globl	_ZN7rocprim17ROCPRIM_400000_NS6detail17trampoline_kernelINS0_14default_configENS1_25partition_config_selectorILNS1_17partition_subalgoE8EN6thrust23THRUST_200600_302600_NS5tupleIffNS7_9null_typeES9_S9_S9_S9_S9_S9_S9_EENS0_10empty_typeEbEEZZNS1_14partition_implILS5_8ELb0ES3_jNS7_6detail15normal_iteratorINS7_10device_ptrISA_EEEEPSB_PKSB_NS0_5tupleIJSI_SB_EEENSM_IJSJ_SJ_EEENS0_18inequality_wrapperINS7_8equal_toISA_EEEEPmJSB_EEE10hipError_tPvRmT3_T4_T5_T6_T7_T9_mT8_P12ihipStream_tbDpT10_ENKUlT_T0_E_clISt17integral_constantIbLb1EES1D_EEDaS18_S19_EUlS18_E_NS1_11comp_targetILNS1_3genE2ELNS1_11target_archE906ELNS1_3gpuE6ELNS1_3repE0EEENS1_30default_config_static_selectorELNS0_4arch9wavefront6targetE1EEEvT1_
	.p2align	8
	.type	_ZN7rocprim17ROCPRIM_400000_NS6detail17trampoline_kernelINS0_14default_configENS1_25partition_config_selectorILNS1_17partition_subalgoE8EN6thrust23THRUST_200600_302600_NS5tupleIffNS7_9null_typeES9_S9_S9_S9_S9_S9_S9_EENS0_10empty_typeEbEEZZNS1_14partition_implILS5_8ELb0ES3_jNS7_6detail15normal_iteratorINS7_10device_ptrISA_EEEEPSB_PKSB_NS0_5tupleIJSI_SB_EEENSM_IJSJ_SJ_EEENS0_18inequality_wrapperINS7_8equal_toISA_EEEEPmJSB_EEE10hipError_tPvRmT3_T4_T5_T6_T7_T9_mT8_P12ihipStream_tbDpT10_ENKUlT_T0_E_clISt17integral_constantIbLb1EES1D_EEDaS18_S19_EUlS18_E_NS1_11comp_targetILNS1_3genE2ELNS1_11target_archE906ELNS1_3gpuE6ELNS1_3repE0EEENS1_30default_config_static_selectorELNS0_4arch9wavefront6targetE1EEEvT1_,@function
_ZN7rocprim17ROCPRIM_400000_NS6detail17trampoline_kernelINS0_14default_configENS1_25partition_config_selectorILNS1_17partition_subalgoE8EN6thrust23THRUST_200600_302600_NS5tupleIffNS7_9null_typeES9_S9_S9_S9_S9_S9_S9_EENS0_10empty_typeEbEEZZNS1_14partition_implILS5_8ELb0ES3_jNS7_6detail15normal_iteratorINS7_10device_ptrISA_EEEEPSB_PKSB_NS0_5tupleIJSI_SB_EEENSM_IJSJ_SJ_EEENS0_18inequality_wrapperINS7_8equal_toISA_EEEEPmJSB_EEE10hipError_tPvRmT3_T4_T5_T6_T7_T9_mT8_P12ihipStream_tbDpT10_ENKUlT_T0_E_clISt17integral_constantIbLb1EES1D_EEDaS18_S19_EUlS18_E_NS1_11comp_targetILNS1_3genE2ELNS1_11target_archE906ELNS1_3gpuE6ELNS1_3repE0EEENS1_30default_config_static_selectorELNS0_4arch9wavefront6targetE1EEEvT1_: ; @_ZN7rocprim17ROCPRIM_400000_NS6detail17trampoline_kernelINS0_14default_configENS1_25partition_config_selectorILNS1_17partition_subalgoE8EN6thrust23THRUST_200600_302600_NS5tupleIffNS7_9null_typeES9_S9_S9_S9_S9_S9_S9_EENS0_10empty_typeEbEEZZNS1_14partition_implILS5_8ELb0ES3_jNS7_6detail15normal_iteratorINS7_10device_ptrISA_EEEEPSB_PKSB_NS0_5tupleIJSI_SB_EEENSM_IJSJ_SJ_EEENS0_18inequality_wrapperINS7_8equal_toISA_EEEEPmJSB_EEE10hipError_tPvRmT3_T4_T5_T6_T7_T9_mT8_P12ihipStream_tbDpT10_ENKUlT_T0_E_clISt17integral_constantIbLb1EES1D_EEDaS18_S19_EUlS18_E_NS1_11comp_targetILNS1_3genE2ELNS1_11target_archE906ELNS1_3gpuE6ELNS1_3repE0EEENS1_30default_config_static_selectorELNS0_4arch9wavefront6targetE1EEEvT1_
; %bb.0:
	.section	.rodata,"a",@progbits
	.p2align	6, 0x0
	.amdhsa_kernel _ZN7rocprim17ROCPRIM_400000_NS6detail17trampoline_kernelINS0_14default_configENS1_25partition_config_selectorILNS1_17partition_subalgoE8EN6thrust23THRUST_200600_302600_NS5tupleIffNS7_9null_typeES9_S9_S9_S9_S9_S9_S9_EENS0_10empty_typeEbEEZZNS1_14partition_implILS5_8ELb0ES3_jNS7_6detail15normal_iteratorINS7_10device_ptrISA_EEEEPSB_PKSB_NS0_5tupleIJSI_SB_EEENSM_IJSJ_SJ_EEENS0_18inequality_wrapperINS7_8equal_toISA_EEEEPmJSB_EEE10hipError_tPvRmT3_T4_T5_T6_T7_T9_mT8_P12ihipStream_tbDpT10_ENKUlT_T0_E_clISt17integral_constantIbLb1EES1D_EEDaS18_S19_EUlS18_E_NS1_11comp_targetILNS1_3genE2ELNS1_11target_archE906ELNS1_3gpuE6ELNS1_3repE0EEENS1_30default_config_static_selectorELNS0_4arch9wavefront6targetE1EEEvT1_
		.amdhsa_group_segment_fixed_size 0
		.amdhsa_private_segment_fixed_size 0
		.amdhsa_kernarg_size 128
		.amdhsa_user_sgpr_count 2
		.amdhsa_user_sgpr_dispatch_ptr 0
		.amdhsa_user_sgpr_queue_ptr 0
		.amdhsa_user_sgpr_kernarg_segment_ptr 1
		.amdhsa_user_sgpr_dispatch_id 0
		.amdhsa_user_sgpr_kernarg_preload_length 0
		.amdhsa_user_sgpr_kernarg_preload_offset 0
		.amdhsa_user_sgpr_private_segment_size 0
		.amdhsa_uses_dynamic_stack 0
		.amdhsa_enable_private_segment 0
		.amdhsa_system_sgpr_workgroup_id_x 1
		.amdhsa_system_sgpr_workgroup_id_y 0
		.amdhsa_system_sgpr_workgroup_id_z 0
		.amdhsa_system_sgpr_workgroup_info 0
		.amdhsa_system_vgpr_workitem_id 0
		.amdhsa_next_free_vgpr 1
		.amdhsa_next_free_sgpr 0
		.amdhsa_accum_offset 4
		.amdhsa_reserve_vcc 0
		.amdhsa_float_round_mode_32 0
		.amdhsa_float_round_mode_16_64 0
		.amdhsa_float_denorm_mode_32 3
		.amdhsa_float_denorm_mode_16_64 3
		.amdhsa_dx10_clamp 1
		.amdhsa_ieee_mode 1
		.amdhsa_fp16_overflow 0
		.amdhsa_tg_split 0
		.amdhsa_exception_fp_ieee_invalid_op 0
		.amdhsa_exception_fp_denorm_src 0
		.amdhsa_exception_fp_ieee_div_zero 0
		.amdhsa_exception_fp_ieee_overflow 0
		.amdhsa_exception_fp_ieee_underflow 0
		.amdhsa_exception_fp_ieee_inexact 0
		.amdhsa_exception_int_div_zero 0
	.end_amdhsa_kernel
	.section	.text._ZN7rocprim17ROCPRIM_400000_NS6detail17trampoline_kernelINS0_14default_configENS1_25partition_config_selectorILNS1_17partition_subalgoE8EN6thrust23THRUST_200600_302600_NS5tupleIffNS7_9null_typeES9_S9_S9_S9_S9_S9_S9_EENS0_10empty_typeEbEEZZNS1_14partition_implILS5_8ELb0ES3_jNS7_6detail15normal_iteratorINS7_10device_ptrISA_EEEEPSB_PKSB_NS0_5tupleIJSI_SB_EEENSM_IJSJ_SJ_EEENS0_18inequality_wrapperINS7_8equal_toISA_EEEEPmJSB_EEE10hipError_tPvRmT3_T4_T5_T6_T7_T9_mT8_P12ihipStream_tbDpT10_ENKUlT_T0_E_clISt17integral_constantIbLb1EES1D_EEDaS18_S19_EUlS18_E_NS1_11comp_targetILNS1_3genE2ELNS1_11target_archE906ELNS1_3gpuE6ELNS1_3repE0EEENS1_30default_config_static_selectorELNS0_4arch9wavefront6targetE1EEEvT1_,"axG",@progbits,_ZN7rocprim17ROCPRIM_400000_NS6detail17trampoline_kernelINS0_14default_configENS1_25partition_config_selectorILNS1_17partition_subalgoE8EN6thrust23THRUST_200600_302600_NS5tupleIffNS7_9null_typeES9_S9_S9_S9_S9_S9_S9_EENS0_10empty_typeEbEEZZNS1_14partition_implILS5_8ELb0ES3_jNS7_6detail15normal_iteratorINS7_10device_ptrISA_EEEEPSB_PKSB_NS0_5tupleIJSI_SB_EEENSM_IJSJ_SJ_EEENS0_18inequality_wrapperINS7_8equal_toISA_EEEEPmJSB_EEE10hipError_tPvRmT3_T4_T5_T6_T7_T9_mT8_P12ihipStream_tbDpT10_ENKUlT_T0_E_clISt17integral_constantIbLb1EES1D_EEDaS18_S19_EUlS18_E_NS1_11comp_targetILNS1_3genE2ELNS1_11target_archE906ELNS1_3gpuE6ELNS1_3repE0EEENS1_30default_config_static_selectorELNS0_4arch9wavefront6targetE1EEEvT1_,comdat
.Lfunc_end115:
	.size	_ZN7rocprim17ROCPRIM_400000_NS6detail17trampoline_kernelINS0_14default_configENS1_25partition_config_selectorILNS1_17partition_subalgoE8EN6thrust23THRUST_200600_302600_NS5tupleIffNS7_9null_typeES9_S9_S9_S9_S9_S9_S9_EENS0_10empty_typeEbEEZZNS1_14partition_implILS5_8ELb0ES3_jNS7_6detail15normal_iteratorINS7_10device_ptrISA_EEEEPSB_PKSB_NS0_5tupleIJSI_SB_EEENSM_IJSJ_SJ_EEENS0_18inequality_wrapperINS7_8equal_toISA_EEEEPmJSB_EEE10hipError_tPvRmT3_T4_T5_T6_T7_T9_mT8_P12ihipStream_tbDpT10_ENKUlT_T0_E_clISt17integral_constantIbLb1EES1D_EEDaS18_S19_EUlS18_E_NS1_11comp_targetILNS1_3genE2ELNS1_11target_archE906ELNS1_3gpuE6ELNS1_3repE0EEENS1_30default_config_static_selectorELNS0_4arch9wavefront6targetE1EEEvT1_, .Lfunc_end115-_ZN7rocprim17ROCPRIM_400000_NS6detail17trampoline_kernelINS0_14default_configENS1_25partition_config_selectorILNS1_17partition_subalgoE8EN6thrust23THRUST_200600_302600_NS5tupleIffNS7_9null_typeES9_S9_S9_S9_S9_S9_S9_EENS0_10empty_typeEbEEZZNS1_14partition_implILS5_8ELb0ES3_jNS7_6detail15normal_iteratorINS7_10device_ptrISA_EEEEPSB_PKSB_NS0_5tupleIJSI_SB_EEENSM_IJSJ_SJ_EEENS0_18inequality_wrapperINS7_8equal_toISA_EEEEPmJSB_EEE10hipError_tPvRmT3_T4_T5_T6_T7_T9_mT8_P12ihipStream_tbDpT10_ENKUlT_T0_E_clISt17integral_constantIbLb1EES1D_EEDaS18_S19_EUlS18_E_NS1_11comp_targetILNS1_3genE2ELNS1_11target_archE906ELNS1_3gpuE6ELNS1_3repE0EEENS1_30default_config_static_selectorELNS0_4arch9wavefront6targetE1EEEvT1_
                                        ; -- End function
	.section	.AMDGPU.csdata,"",@progbits
; Kernel info:
; codeLenInByte = 0
; NumSgprs: 6
; NumVgprs: 0
; NumAgprs: 0
; TotalNumVgprs: 0
; ScratchSize: 0
; MemoryBound: 0
; FloatMode: 240
; IeeeMode: 1
; LDSByteSize: 0 bytes/workgroup (compile time only)
; SGPRBlocks: 0
; VGPRBlocks: 0
; NumSGPRsForWavesPerEU: 6
; NumVGPRsForWavesPerEU: 1
; AccumOffset: 4
; Occupancy: 8
; WaveLimiterHint : 0
; COMPUTE_PGM_RSRC2:SCRATCH_EN: 0
; COMPUTE_PGM_RSRC2:USER_SGPR: 2
; COMPUTE_PGM_RSRC2:TRAP_HANDLER: 0
; COMPUTE_PGM_RSRC2:TGID_X_EN: 1
; COMPUTE_PGM_RSRC2:TGID_Y_EN: 0
; COMPUTE_PGM_RSRC2:TGID_Z_EN: 0
; COMPUTE_PGM_RSRC2:TIDIG_COMP_CNT: 0
; COMPUTE_PGM_RSRC3_GFX90A:ACCUM_OFFSET: 0
; COMPUTE_PGM_RSRC3_GFX90A:TG_SPLIT: 0
	.section	.text._ZN7rocprim17ROCPRIM_400000_NS6detail17trampoline_kernelINS0_14default_configENS1_25partition_config_selectorILNS1_17partition_subalgoE8EN6thrust23THRUST_200600_302600_NS5tupleIffNS7_9null_typeES9_S9_S9_S9_S9_S9_S9_EENS0_10empty_typeEbEEZZNS1_14partition_implILS5_8ELb0ES3_jNS7_6detail15normal_iteratorINS7_10device_ptrISA_EEEEPSB_PKSB_NS0_5tupleIJSI_SB_EEENSM_IJSJ_SJ_EEENS0_18inequality_wrapperINS7_8equal_toISA_EEEEPmJSB_EEE10hipError_tPvRmT3_T4_T5_T6_T7_T9_mT8_P12ihipStream_tbDpT10_ENKUlT_T0_E_clISt17integral_constantIbLb1EES1D_EEDaS18_S19_EUlS18_E_NS1_11comp_targetILNS1_3genE10ELNS1_11target_archE1200ELNS1_3gpuE4ELNS1_3repE0EEENS1_30default_config_static_selectorELNS0_4arch9wavefront6targetE1EEEvT1_,"axG",@progbits,_ZN7rocprim17ROCPRIM_400000_NS6detail17trampoline_kernelINS0_14default_configENS1_25partition_config_selectorILNS1_17partition_subalgoE8EN6thrust23THRUST_200600_302600_NS5tupleIffNS7_9null_typeES9_S9_S9_S9_S9_S9_S9_EENS0_10empty_typeEbEEZZNS1_14partition_implILS5_8ELb0ES3_jNS7_6detail15normal_iteratorINS7_10device_ptrISA_EEEEPSB_PKSB_NS0_5tupleIJSI_SB_EEENSM_IJSJ_SJ_EEENS0_18inequality_wrapperINS7_8equal_toISA_EEEEPmJSB_EEE10hipError_tPvRmT3_T4_T5_T6_T7_T9_mT8_P12ihipStream_tbDpT10_ENKUlT_T0_E_clISt17integral_constantIbLb1EES1D_EEDaS18_S19_EUlS18_E_NS1_11comp_targetILNS1_3genE10ELNS1_11target_archE1200ELNS1_3gpuE4ELNS1_3repE0EEENS1_30default_config_static_selectorELNS0_4arch9wavefront6targetE1EEEvT1_,comdat
	.protected	_ZN7rocprim17ROCPRIM_400000_NS6detail17trampoline_kernelINS0_14default_configENS1_25partition_config_selectorILNS1_17partition_subalgoE8EN6thrust23THRUST_200600_302600_NS5tupleIffNS7_9null_typeES9_S9_S9_S9_S9_S9_S9_EENS0_10empty_typeEbEEZZNS1_14partition_implILS5_8ELb0ES3_jNS7_6detail15normal_iteratorINS7_10device_ptrISA_EEEEPSB_PKSB_NS0_5tupleIJSI_SB_EEENSM_IJSJ_SJ_EEENS0_18inequality_wrapperINS7_8equal_toISA_EEEEPmJSB_EEE10hipError_tPvRmT3_T4_T5_T6_T7_T9_mT8_P12ihipStream_tbDpT10_ENKUlT_T0_E_clISt17integral_constantIbLb1EES1D_EEDaS18_S19_EUlS18_E_NS1_11comp_targetILNS1_3genE10ELNS1_11target_archE1200ELNS1_3gpuE4ELNS1_3repE0EEENS1_30default_config_static_selectorELNS0_4arch9wavefront6targetE1EEEvT1_ ; -- Begin function _ZN7rocprim17ROCPRIM_400000_NS6detail17trampoline_kernelINS0_14default_configENS1_25partition_config_selectorILNS1_17partition_subalgoE8EN6thrust23THRUST_200600_302600_NS5tupleIffNS7_9null_typeES9_S9_S9_S9_S9_S9_S9_EENS0_10empty_typeEbEEZZNS1_14partition_implILS5_8ELb0ES3_jNS7_6detail15normal_iteratorINS7_10device_ptrISA_EEEEPSB_PKSB_NS0_5tupleIJSI_SB_EEENSM_IJSJ_SJ_EEENS0_18inequality_wrapperINS7_8equal_toISA_EEEEPmJSB_EEE10hipError_tPvRmT3_T4_T5_T6_T7_T9_mT8_P12ihipStream_tbDpT10_ENKUlT_T0_E_clISt17integral_constantIbLb1EES1D_EEDaS18_S19_EUlS18_E_NS1_11comp_targetILNS1_3genE10ELNS1_11target_archE1200ELNS1_3gpuE4ELNS1_3repE0EEENS1_30default_config_static_selectorELNS0_4arch9wavefront6targetE1EEEvT1_
	.globl	_ZN7rocprim17ROCPRIM_400000_NS6detail17trampoline_kernelINS0_14default_configENS1_25partition_config_selectorILNS1_17partition_subalgoE8EN6thrust23THRUST_200600_302600_NS5tupleIffNS7_9null_typeES9_S9_S9_S9_S9_S9_S9_EENS0_10empty_typeEbEEZZNS1_14partition_implILS5_8ELb0ES3_jNS7_6detail15normal_iteratorINS7_10device_ptrISA_EEEEPSB_PKSB_NS0_5tupleIJSI_SB_EEENSM_IJSJ_SJ_EEENS0_18inequality_wrapperINS7_8equal_toISA_EEEEPmJSB_EEE10hipError_tPvRmT3_T4_T5_T6_T7_T9_mT8_P12ihipStream_tbDpT10_ENKUlT_T0_E_clISt17integral_constantIbLb1EES1D_EEDaS18_S19_EUlS18_E_NS1_11comp_targetILNS1_3genE10ELNS1_11target_archE1200ELNS1_3gpuE4ELNS1_3repE0EEENS1_30default_config_static_selectorELNS0_4arch9wavefront6targetE1EEEvT1_
	.p2align	8
	.type	_ZN7rocprim17ROCPRIM_400000_NS6detail17trampoline_kernelINS0_14default_configENS1_25partition_config_selectorILNS1_17partition_subalgoE8EN6thrust23THRUST_200600_302600_NS5tupleIffNS7_9null_typeES9_S9_S9_S9_S9_S9_S9_EENS0_10empty_typeEbEEZZNS1_14partition_implILS5_8ELb0ES3_jNS7_6detail15normal_iteratorINS7_10device_ptrISA_EEEEPSB_PKSB_NS0_5tupleIJSI_SB_EEENSM_IJSJ_SJ_EEENS0_18inequality_wrapperINS7_8equal_toISA_EEEEPmJSB_EEE10hipError_tPvRmT3_T4_T5_T6_T7_T9_mT8_P12ihipStream_tbDpT10_ENKUlT_T0_E_clISt17integral_constantIbLb1EES1D_EEDaS18_S19_EUlS18_E_NS1_11comp_targetILNS1_3genE10ELNS1_11target_archE1200ELNS1_3gpuE4ELNS1_3repE0EEENS1_30default_config_static_selectorELNS0_4arch9wavefront6targetE1EEEvT1_,@function
_ZN7rocprim17ROCPRIM_400000_NS6detail17trampoline_kernelINS0_14default_configENS1_25partition_config_selectorILNS1_17partition_subalgoE8EN6thrust23THRUST_200600_302600_NS5tupleIffNS7_9null_typeES9_S9_S9_S9_S9_S9_S9_EENS0_10empty_typeEbEEZZNS1_14partition_implILS5_8ELb0ES3_jNS7_6detail15normal_iteratorINS7_10device_ptrISA_EEEEPSB_PKSB_NS0_5tupleIJSI_SB_EEENSM_IJSJ_SJ_EEENS0_18inequality_wrapperINS7_8equal_toISA_EEEEPmJSB_EEE10hipError_tPvRmT3_T4_T5_T6_T7_T9_mT8_P12ihipStream_tbDpT10_ENKUlT_T0_E_clISt17integral_constantIbLb1EES1D_EEDaS18_S19_EUlS18_E_NS1_11comp_targetILNS1_3genE10ELNS1_11target_archE1200ELNS1_3gpuE4ELNS1_3repE0EEENS1_30default_config_static_selectorELNS0_4arch9wavefront6targetE1EEEvT1_: ; @_ZN7rocprim17ROCPRIM_400000_NS6detail17trampoline_kernelINS0_14default_configENS1_25partition_config_selectorILNS1_17partition_subalgoE8EN6thrust23THRUST_200600_302600_NS5tupleIffNS7_9null_typeES9_S9_S9_S9_S9_S9_S9_EENS0_10empty_typeEbEEZZNS1_14partition_implILS5_8ELb0ES3_jNS7_6detail15normal_iteratorINS7_10device_ptrISA_EEEEPSB_PKSB_NS0_5tupleIJSI_SB_EEENSM_IJSJ_SJ_EEENS0_18inequality_wrapperINS7_8equal_toISA_EEEEPmJSB_EEE10hipError_tPvRmT3_T4_T5_T6_T7_T9_mT8_P12ihipStream_tbDpT10_ENKUlT_T0_E_clISt17integral_constantIbLb1EES1D_EEDaS18_S19_EUlS18_E_NS1_11comp_targetILNS1_3genE10ELNS1_11target_archE1200ELNS1_3gpuE4ELNS1_3repE0EEENS1_30default_config_static_selectorELNS0_4arch9wavefront6targetE1EEEvT1_
; %bb.0:
	.section	.rodata,"a",@progbits
	.p2align	6, 0x0
	.amdhsa_kernel _ZN7rocprim17ROCPRIM_400000_NS6detail17trampoline_kernelINS0_14default_configENS1_25partition_config_selectorILNS1_17partition_subalgoE8EN6thrust23THRUST_200600_302600_NS5tupleIffNS7_9null_typeES9_S9_S9_S9_S9_S9_S9_EENS0_10empty_typeEbEEZZNS1_14partition_implILS5_8ELb0ES3_jNS7_6detail15normal_iteratorINS7_10device_ptrISA_EEEEPSB_PKSB_NS0_5tupleIJSI_SB_EEENSM_IJSJ_SJ_EEENS0_18inequality_wrapperINS7_8equal_toISA_EEEEPmJSB_EEE10hipError_tPvRmT3_T4_T5_T6_T7_T9_mT8_P12ihipStream_tbDpT10_ENKUlT_T0_E_clISt17integral_constantIbLb1EES1D_EEDaS18_S19_EUlS18_E_NS1_11comp_targetILNS1_3genE10ELNS1_11target_archE1200ELNS1_3gpuE4ELNS1_3repE0EEENS1_30default_config_static_selectorELNS0_4arch9wavefront6targetE1EEEvT1_
		.amdhsa_group_segment_fixed_size 0
		.amdhsa_private_segment_fixed_size 0
		.amdhsa_kernarg_size 128
		.amdhsa_user_sgpr_count 2
		.amdhsa_user_sgpr_dispatch_ptr 0
		.amdhsa_user_sgpr_queue_ptr 0
		.amdhsa_user_sgpr_kernarg_segment_ptr 1
		.amdhsa_user_sgpr_dispatch_id 0
		.amdhsa_user_sgpr_kernarg_preload_length 0
		.amdhsa_user_sgpr_kernarg_preload_offset 0
		.amdhsa_user_sgpr_private_segment_size 0
		.amdhsa_uses_dynamic_stack 0
		.amdhsa_enable_private_segment 0
		.amdhsa_system_sgpr_workgroup_id_x 1
		.amdhsa_system_sgpr_workgroup_id_y 0
		.amdhsa_system_sgpr_workgroup_id_z 0
		.amdhsa_system_sgpr_workgroup_info 0
		.amdhsa_system_vgpr_workitem_id 0
		.amdhsa_next_free_vgpr 1
		.amdhsa_next_free_sgpr 0
		.amdhsa_accum_offset 4
		.amdhsa_reserve_vcc 0
		.amdhsa_float_round_mode_32 0
		.amdhsa_float_round_mode_16_64 0
		.amdhsa_float_denorm_mode_32 3
		.amdhsa_float_denorm_mode_16_64 3
		.amdhsa_dx10_clamp 1
		.amdhsa_ieee_mode 1
		.amdhsa_fp16_overflow 0
		.amdhsa_tg_split 0
		.amdhsa_exception_fp_ieee_invalid_op 0
		.amdhsa_exception_fp_denorm_src 0
		.amdhsa_exception_fp_ieee_div_zero 0
		.amdhsa_exception_fp_ieee_overflow 0
		.amdhsa_exception_fp_ieee_underflow 0
		.amdhsa_exception_fp_ieee_inexact 0
		.amdhsa_exception_int_div_zero 0
	.end_amdhsa_kernel
	.section	.text._ZN7rocprim17ROCPRIM_400000_NS6detail17trampoline_kernelINS0_14default_configENS1_25partition_config_selectorILNS1_17partition_subalgoE8EN6thrust23THRUST_200600_302600_NS5tupleIffNS7_9null_typeES9_S9_S9_S9_S9_S9_S9_EENS0_10empty_typeEbEEZZNS1_14partition_implILS5_8ELb0ES3_jNS7_6detail15normal_iteratorINS7_10device_ptrISA_EEEEPSB_PKSB_NS0_5tupleIJSI_SB_EEENSM_IJSJ_SJ_EEENS0_18inequality_wrapperINS7_8equal_toISA_EEEEPmJSB_EEE10hipError_tPvRmT3_T4_T5_T6_T7_T9_mT8_P12ihipStream_tbDpT10_ENKUlT_T0_E_clISt17integral_constantIbLb1EES1D_EEDaS18_S19_EUlS18_E_NS1_11comp_targetILNS1_3genE10ELNS1_11target_archE1200ELNS1_3gpuE4ELNS1_3repE0EEENS1_30default_config_static_selectorELNS0_4arch9wavefront6targetE1EEEvT1_,"axG",@progbits,_ZN7rocprim17ROCPRIM_400000_NS6detail17trampoline_kernelINS0_14default_configENS1_25partition_config_selectorILNS1_17partition_subalgoE8EN6thrust23THRUST_200600_302600_NS5tupleIffNS7_9null_typeES9_S9_S9_S9_S9_S9_S9_EENS0_10empty_typeEbEEZZNS1_14partition_implILS5_8ELb0ES3_jNS7_6detail15normal_iteratorINS7_10device_ptrISA_EEEEPSB_PKSB_NS0_5tupleIJSI_SB_EEENSM_IJSJ_SJ_EEENS0_18inequality_wrapperINS7_8equal_toISA_EEEEPmJSB_EEE10hipError_tPvRmT3_T4_T5_T6_T7_T9_mT8_P12ihipStream_tbDpT10_ENKUlT_T0_E_clISt17integral_constantIbLb1EES1D_EEDaS18_S19_EUlS18_E_NS1_11comp_targetILNS1_3genE10ELNS1_11target_archE1200ELNS1_3gpuE4ELNS1_3repE0EEENS1_30default_config_static_selectorELNS0_4arch9wavefront6targetE1EEEvT1_,comdat
.Lfunc_end116:
	.size	_ZN7rocprim17ROCPRIM_400000_NS6detail17trampoline_kernelINS0_14default_configENS1_25partition_config_selectorILNS1_17partition_subalgoE8EN6thrust23THRUST_200600_302600_NS5tupleIffNS7_9null_typeES9_S9_S9_S9_S9_S9_S9_EENS0_10empty_typeEbEEZZNS1_14partition_implILS5_8ELb0ES3_jNS7_6detail15normal_iteratorINS7_10device_ptrISA_EEEEPSB_PKSB_NS0_5tupleIJSI_SB_EEENSM_IJSJ_SJ_EEENS0_18inequality_wrapperINS7_8equal_toISA_EEEEPmJSB_EEE10hipError_tPvRmT3_T4_T5_T6_T7_T9_mT8_P12ihipStream_tbDpT10_ENKUlT_T0_E_clISt17integral_constantIbLb1EES1D_EEDaS18_S19_EUlS18_E_NS1_11comp_targetILNS1_3genE10ELNS1_11target_archE1200ELNS1_3gpuE4ELNS1_3repE0EEENS1_30default_config_static_selectorELNS0_4arch9wavefront6targetE1EEEvT1_, .Lfunc_end116-_ZN7rocprim17ROCPRIM_400000_NS6detail17trampoline_kernelINS0_14default_configENS1_25partition_config_selectorILNS1_17partition_subalgoE8EN6thrust23THRUST_200600_302600_NS5tupleIffNS7_9null_typeES9_S9_S9_S9_S9_S9_S9_EENS0_10empty_typeEbEEZZNS1_14partition_implILS5_8ELb0ES3_jNS7_6detail15normal_iteratorINS7_10device_ptrISA_EEEEPSB_PKSB_NS0_5tupleIJSI_SB_EEENSM_IJSJ_SJ_EEENS0_18inequality_wrapperINS7_8equal_toISA_EEEEPmJSB_EEE10hipError_tPvRmT3_T4_T5_T6_T7_T9_mT8_P12ihipStream_tbDpT10_ENKUlT_T0_E_clISt17integral_constantIbLb1EES1D_EEDaS18_S19_EUlS18_E_NS1_11comp_targetILNS1_3genE10ELNS1_11target_archE1200ELNS1_3gpuE4ELNS1_3repE0EEENS1_30default_config_static_selectorELNS0_4arch9wavefront6targetE1EEEvT1_
                                        ; -- End function
	.section	.AMDGPU.csdata,"",@progbits
; Kernel info:
; codeLenInByte = 0
; NumSgprs: 6
; NumVgprs: 0
; NumAgprs: 0
; TotalNumVgprs: 0
; ScratchSize: 0
; MemoryBound: 0
; FloatMode: 240
; IeeeMode: 1
; LDSByteSize: 0 bytes/workgroup (compile time only)
; SGPRBlocks: 0
; VGPRBlocks: 0
; NumSGPRsForWavesPerEU: 6
; NumVGPRsForWavesPerEU: 1
; AccumOffset: 4
; Occupancy: 8
; WaveLimiterHint : 0
; COMPUTE_PGM_RSRC2:SCRATCH_EN: 0
; COMPUTE_PGM_RSRC2:USER_SGPR: 2
; COMPUTE_PGM_RSRC2:TRAP_HANDLER: 0
; COMPUTE_PGM_RSRC2:TGID_X_EN: 1
; COMPUTE_PGM_RSRC2:TGID_Y_EN: 0
; COMPUTE_PGM_RSRC2:TGID_Z_EN: 0
; COMPUTE_PGM_RSRC2:TIDIG_COMP_CNT: 0
; COMPUTE_PGM_RSRC3_GFX90A:ACCUM_OFFSET: 0
; COMPUTE_PGM_RSRC3_GFX90A:TG_SPLIT: 0
	.section	.text._ZN7rocprim17ROCPRIM_400000_NS6detail17trampoline_kernelINS0_14default_configENS1_25partition_config_selectorILNS1_17partition_subalgoE8EN6thrust23THRUST_200600_302600_NS5tupleIffNS7_9null_typeES9_S9_S9_S9_S9_S9_S9_EENS0_10empty_typeEbEEZZNS1_14partition_implILS5_8ELb0ES3_jNS7_6detail15normal_iteratorINS7_10device_ptrISA_EEEEPSB_PKSB_NS0_5tupleIJSI_SB_EEENSM_IJSJ_SJ_EEENS0_18inequality_wrapperINS7_8equal_toISA_EEEEPmJSB_EEE10hipError_tPvRmT3_T4_T5_T6_T7_T9_mT8_P12ihipStream_tbDpT10_ENKUlT_T0_E_clISt17integral_constantIbLb1EES1D_EEDaS18_S19_EUlS18_E_NS1_11comp_targetILNS1_3genE9ELNS1_11target_archE1100ELNS1_3gpuE3ELNS1_3repE0EEENS1_30default_config_static_selectorELNS0_4arch9wavefront6targetE1EEEvT1_,"axG",@progbits,_ZN7rocprim17ROCPRIM_400000_NS6detail17trampoline_kernelINS0_14default_configENS1_25partition_config_selectorILNS1_17partition_subalgoE8EN6thrust23THRUST_200600_302600_NS5tupleIffNS7_9null_typeES9_S9_S9_S9_S9_S9_S9_EENS0_10empty_typeEbEEZZNS1_14partition_implILS5_8ELb0ES3_jNS7_6detail15normal_iteratorINS7_10device_ptrISA_EEEEPSB_PKSB_NS0_5tupleIJSI_SB_EEENSM_IJSJ_SJ_EEENS0_18inequality_wrapperINS7_8equal_toISA_EEEEPmJSB_EEE10hipError_tPvRmT3_T4_T5_T6_T7_T9_mT8_P12ihipStream_tbDpT10_ENKUlT_T0_E_clISt17integral_constantIbLb1EES1D_EEDaS18_S19_EUlS18_E_NS1_11comp_targetILNS1_3genE9ELNS1_11target_archE1100ELNS1_3gpuE3ELNS1_3repE0EEENS1_30default_config_static_selectorELNS0_4arch9wavefront6targetE1EEEvT1_,comdat
	.protected	_ZN7rocprim17ROCPRIM_400000_NS6detail17trampoline_kernelINS0_14default_configENS1_25partition_config_selectorILNS1_17partition_subalgoE8EN6thrust23THRUST_200600_302600_NS5tupleIffNS7_9null_typeES9_S9_S9_S9_S9_S9_S9_EENS0_10empty_typeEbEEZZNS1_14partition_implILS5_8ELb0ES3_jNS7_6detail15normal_iteratorINS7_10device_ptrISA_EEEEPSB_PKSB_NS0_5tupleIJSI_SB_EEENSM_IJSJ_SJ_EEENS0_18inequality_wrapperINS7_8equal_toISA_EEEEPmJSB_EEE10hipError_tPvRmT3_T4_T5_T6_T7_T9_mT8_P12ihipStream_tbDpT10_ENKUlT_T0_E_clISt17integral_constantIbLb1EES1D_EEDaS18_S19_EUlS18_E_NS1_11comp_targetILNS1_3genE9ELNS1_11target_archE1100ELNS1_3gpuE3ELNS1_3repE0EEENS1_30default_config_static_selectorELNS0_4arch9wavefront6targetE1EEEvT1_ ; -- Begin function _ZN7rocprim17ROCPRIM_400000_NS6detail17trampoline_kernelINS0_14default_configENS1_25partition_config_selectorILNS1_17partition_subalgoE8EN6thrust23THRUST_200600_302600_NS5tupleIffNS7_9null_typeES9_S9_S9_S9_S9_S9_S9_EENS0_10empty_typeEbEEZZNS1_14partition_implILS5_8ELb0ES3_jNS7_6detail15normal_iteratorINS7_10device_ptrISA_EEEEPSB_PKSB_NS0_5tupleIJSI_SB_EEENSM_IJSJ_SJ_EEENS0_18inequality_wrapperINS7_8equal_toISA_EEEEPmJSB_EEE10hipError_tPvRmT3_T4_T5_T6_T7_T9_mT8_P12ihipStream_tbDpT10_ENKUlT_T0_E_clISt17integral_constantIbLb1EES1D_EEDaS18_S19_EUlS18_E_NS1_11comp_targetILNS1_3genE9ELNS1_11target_archE1100ELNS1_3gpuE3ELNS1_3repE0EEENS1_30default_config_static_selectorELNS0_4arch9wavefront6targetE1EEEvT1_
	.globl	_ZN7rocprim17ROCPRIM_400000_NS6detail17trampoline_kernelINS0_14default_configENS1_25partition_config_selectorILNS1_17partition_subalgoE8EN6thrust23THRUST_200600_302600_NS5tupleIffNS7_9null_typeES9_S9_S9_S9_S9_S9_S9_EENS0_10empty_typeEbEEZZNS1_14partition_implILS5_8ELb0ES3_jNS7_6detail15normal_iteratorINS7_10device_ptrISA_EEEEPSB_PKSB_NS0_5tupleIJSI_SB_EEENSM_IJSJ_SJ_EEENS0_18inequality_wrapperINS7_8equal_toISA_EEEEPmJSB_EEE10hipError_tPvRmT3_T4_T5_T6_T7_T9_mT8_P12ihipStream_tbDpT10_ENKUlT_T0_E_clISt17integral_constantIbLb1EES1D_EEDaS18_S19_EUlS18_E_NS1_11comp_targetILNS1_3genE9ELNS1_11target_archE1100ELNS1_3gpuE3ELNS1_3repE0EEENS1_30default_config_static_selectorELNS0_4arch9wavefront6targetE1EEEvT1_
	.p2align	8
	.type	_ZN7rocprim17ROCPRIM_400000_NS6detail17trampoline_kernelINS0_14default_configENS1_25partition_config_selectorILNS1_17partition_subalgoE8EN6thrust23THRUST_200600_302600_NS5tupleIffNS7_9null_typeES9_S9_S9_S9_S9_S9_S9_EENS0_10empty_typeEbEEZZNS1_14partition_implILS5_8ELb0ES3_jNS7_6detail15normal_iteratorINS7_10device_ptrISA_EEEEPSB_PKSB_NS0_5tupleIJSI_SB_EEENSM_IJSJ_SJ_EEENS0_18inequality_wrapperINS7_8equal_toISA_EEEEPmJSB_EEE10hipError_tPvRmT3_T4_T5_T6_T7_T9_mT8_P12ihipStream_tbDpT10_ENKUlT_T0_E_clISt17integral_constantIbLb1EES1D_EEDaS18_S19_EUlS18_E_NS1_11comp_targetILNS1_3genE9ELNS1_11target_archE1100ELNS1_3gpuE3ELNS1_3repE0EEENS1_30default_config_static_selectorELNS0_4arch9wavefront6targetE1EEEvT1_,@function
_ZN7rocprim17ROCPRIM_400000_NS6detail17trampoline_kernelINS0_14default_configENS1_25partition_config_selectorILNS1_17partition_subalgoE8EN6thrust23THRUST_200600_302600_NS5tupleIffNS7_9null_typeES9_S9_S9_S9_S9_S9_S9_EENS0_10empty_typeEbEEZZNS1_14partition_implILS5_8ELb0ES3_jNS7_6detail15normal_iteratorINS7_10device_ptrISA_EEEEPSB_PKSB_NS0_5tupleIJSI_SB_EEENSM_IJSJ_SJ_EEENS0_18inequality_wrapperINS7_8equal_toISA_EEEEPmJSB_EEE10hipError_tPvRmT3_T4_T5_T6_T7_T9_mT8_P12ihipStream_tbDpT10_ENKUlT_T0_E_clISt17integral_constantIbLb1EES1D_EEDaS18_S19_EUlS18_E_NS1_11comp_targetILNS1_3genE9ELNS1_11target_archE1100ELNS1_3gpuE3ELNS1_3repE0EEENS1_30default_config_static_selectorELNS0_4arch9wavefront6targetE1EEEvT1_: ; @_ZN7rocprim17ROCPRIM_400000_NS6detail17trampoline_kernelINS0_14default_configENS1_25partition_config_selectorILNS1_17partition_subalgoE8EN6thrust23THRUST_200600_302600_NS5tupleIffNS7_9null_typeES9_S9_S9_S9_S9_S9_S9_EENS0_10empty_typeEbEEZZNS1_14partition_implILS5_8ELb0ES3_jNS7_6detail15normal_iteratorINS7_10device_ptrISA_EEEEPSB_PKSB_NS0_5tupleIJSI_SB_EEENSM_IJSJ_SJ_EEENS0_18inequality_wrapperINS7_8equal_toISA_EEEEPmJSB_EEE10hipError_tPvRmT3_T4_T5_T6_T7_T9_mT8_P12ihipStream_tbDpT10_ENKUlT_T0_E_clISt17integral_constantIbLb1EES1D_EEDaS18_S19_EUlS18_E_NS1_11comp_targetILNS1_3genE9ELNS1_11target_archE1100ELNS1_3gpuE3ELNS1_3repE0EEENS1_30default_config_static_selectorELNS0_4arch9wavefront6targetE1EEEvT1_
; %bb.0:
	.section	.rodata,"a",@progbits
	.p2align	6, 0x0
	.amdhsa_kernel _ZN7rocprim17ROCPRIM_400000_NS6detail17trampoline_kernelINS0_14default_configENS1_25partition_config_selectorILNS1_17partition_subalgoE8EN6thrust23THRUST_200600_302600_NS5tupleIffNS7_9null_typeES9_S9_S9_S9_S9_S9_S9_EENS0_10empty_typeEbEEZZNS1_14partition_implILS5_8ELb0ES3_jNS7_6detail15normal_iteratorINS7_10device_ptrISA_EEEEPSB_PKSB_NS0_5tupleIJSI_SB_EEENSM_IJSJ_SJ_EEENS0_18inequality_wrapperINS7_8equal_toISA_EEEEPmJSB_EEE10hipError_tPvRmT3_T4_T5_T6_T7_T9_mT8_P12ihipStream_tbDpT10_ENKUlT_T0_E_clISt17integral_constantIbLb1EES1D_EEDaS18_S19_EUlS18_E_NS1_11comp_targetILNS1_3genE9ELNS1_11target_archE1100ELNS1_3gpuE3ELNS1_3repE0EEENS1_30default_config_static_selectorELNS0_4arch9wavefront6targetE1EEEvT1_
		.amdhsa_group_segment_fixed_size 0
		.amdhsa_private_segment_fixed_size 0
		.amdhsa_kernarg_size 128
		.amdhsa_user_sgpr_count 2
		.amdhsa_user_sgpr_dispatch_ptr 0
		.amdhsa_user_sgpr_queue_ptr 0
		.amdhsa_user_sgpr_kernarg_segment_ptr 1
		.amdhsa_user_sgpr_dispatch_id 0
		.amdhsa_user_sgpr_kernarg_preload_length 0
		.amdhsa_user_sgpr_kernarg_preload_offset 0
		.amdhsa_user_sgpr_private_segment_size 0
		.amdhsa_uses_dynamic_stack 0
		.amdhsa_enable_private_segment 0
		.amdhsa_system_sgpr_workgroup_id_x 1
		.amdhsa_system_sgpr_workgroup_id_y 0
		.amdhsa_system_sgpr_workgroup_id_z 0
		.amdhsa_system_sgpr_workgroup_info 0
		.amdhsa_system_vgpr_workitem_id 0
		.amdhsa_next_free_vgpr 1
		.amdhsa_next_free_sgpr 0
		.amdhsa_accum_offset 4
		.amdhsa_reserve_vcc 0
		.amdhsa_float_round_mode_32 0
		.amdhsa_float_round_mode_16_64 0
		.amdhsa_float_denorm_mode_32 3
		.amdhsa_float_denorm_mode_16_64 3
		.amdhsa_dx10_clamp 1
		.amdhsa_ieee_mode 1
		.amdhsa_fp16_overflow 0
		.amdhsa_tg_split 0
		.amdhsa_exception_fp_ieee_invalid_op 0
		.amdhsa_exception_fp_denorm_src 0
		.amdhsa_exception_fp_ieee_div_zero 0
		.amdhsa_exception_fp_ieee_overflow 0
		.amdhsa_exception_fp_ieee_underflow 0
		.amdhsa_exception_fp_ieee_inexact 0
		.amdhsa_exception_int_div_zero 0
	.end_amdhsa_kernel
	.section	.text._ZN7rocprim17ROCPRIM_400000_NS6detail17trampoline_kernelINS0_14default_configENS1_25partition_config_selectorILNS1_17partition_subalgoE8EN6thrust23THRUST_200600_302600_NS5tupleIffNS7_9null_typeES9_S9_S9_S9_S9_S9_S9_EENS0_10empty_typeEbEEZZNS1_14partition_implILS5_8ELb0ES3_jNS7_6detail15normal_iteratorINS7_10device_ptrISA_EEEEPSB_PKSB_NS0_5tupleIJSI_SB_EEENSM_IJSJ_SJ_EEENS0_18inequality_wrapperINS7_8equal_toISA_EEEEPmJSB_EEE10hipError_tPvRmT3_T4_T5_T6_T7_T9_mT8_P12ihipStream_tbDpT10_ENKUlT_T0_E_clISt17integral_constantIbLb1EES1D_EEDaS18_S19_EUlS18_E_NS1_11comp_targetILNS1_3genE9ELNS1_11target_archE1100ELNS1_3gpuE3ELNS1_3repE0EEENS1_30default_config_static_selectorELNS0_4arch9wavefront6targetE1EEEvT1_,"axG",@progbits,_ZN7rocprim17ROCPRIM_400000_NS6detail17trampoline_kernelINS0_14default_configENS1_25partition_config_selectorILNS1_17partition_subalgoE8EN6thrust23THRUST_200600_302600_NS5tupleIffNS7_9null_typeES9_S9_S9_S9_S9_S9_S9_EENS0_10empty_typeEbEEZZNS1_14partition_implILS5_8ELb0ES3_jNS7_6detail15normal_iteratorINS7_10device_ptrISA_EEEEPSB_PKSB_NS0_5tupleIJSI_SB_EEENSM_IJSJ_SJ_EEENS0_18inequality_wrapperINS7_8equal_toISA_EEEEPmJSB_EEE10hipError_tPvRmT3_T4_T5_T6_T7_T9_mT8_P12ihipStream_tbDpT10_ENKUlT_T0_E_clISt17integral_constantIbLb1EES1D_EEDaS18_S19_EUlS18_E_NS1_11comp_targetILNS1_3genE9ELNS1_11target_archE1100ELNS1_3gpuE3ELNS1_3repE0EEENS1_30default_config_static_selectorELNS0_4arch9wavefront6targetE1EEEvT1_,comdat
.Lfunc_end117:
	.size	_ZN7rocprim17ROCPRIM_400000_NS6detail17trampoline_kernelINS0_14default_configENS1_25partition_config_selectorILNS1_17partition_subalgoE8EN6thrust23THRUST_200600_302600_NS5tupleIffNS7_9null_typeES9_S9_S9_S9_S9_S9_S9_EENS0_10empty_typeEbEEZZNS1_14partition_implILS5_8ELb0ES3_jNS7_6detail15normal_iteratorINS7_10device_ptrISA_EEEEPSB_PKSB_NS0_5tupleIJSI_SB_EEENSM_IJSJ_SJ_EEENS0_18inequality_wrapperINS7_8equal_toISA_EEEEPmJSB_EEE10hipError_tPvRmT3_T4_T5_T6_T7_T9_mT8_P12ihipStream_tbDpT10_ENKUlT_T0_E_clISt17integral_constantIbLb1EES1D_EEDaS18_S19_EUlS18_E_NS1_11comp_targetILNS1_3genE9ELNS1_11target_archE1100ELNS1_3gpuE3ELNS1_3repE0EEENS1_30default_config_static_selectorELNS0_4arch9wavefront6targetE1EEEvT1_, .Lfunc_end117-_ZN7rocprim17ROCPRIM_400000_NS6detail17trampoline_kernelINS0_14default_configENS1_25partition_config_selectorILNS1_17partition_subalgoE8EN6thrust23THRUST_200600_302600_NS5tupleIffNS7_9null_typeES9_S9_S9_S9_S9_S9_S9_EENS0_10empty_typeEbEEZZNS1_14partition_implILS5_8ELb0ES3_jNS7_6detail15normal_iteratorINS7_10device_ptrISA_EEEEPSB_PKSB_NS0_5tupleIJSI_SB_EEENSM_IJSJ_SJ_EEENS0_18inequality_wrapperINS7_8equal_toISA_EEEEPmJSB_EEE10hipError_tPvRmT3_T4_T5_T6_T7_T9_mT8_P12ihipStream_tbDpT10_ENKUlT_T0_E_clISt17integral_constantIbLb1EES1D_EEDaS18_S19_EUlS18_E_NS1_11comp_targetILNS1_3genE9ELNS1_11target_archE1100ELNS1_3gpuE3ELNS1_3repE0EEENS1_30default_config_static_selectorELNS0_4arch9wavefront6targetE1EEEvT1_
                                        ; -- End function
	.section	.AMDGPU.csdata,"",@progbits
; Kernel info:
; codeLenInByte = 0
; NumSgprs: 6
; NumVgprs: 0
; NumAgprs: 0
; TotalNumVgprs: 0
; ScratchSize: 0
; MemoryBound: 0
; FloatMode: 240
; IeeeMode: 1
; LDSByteSize: 0 bytes/workgroup (compile time only)
; SGPRBlocks: 0
; VGPRBlocks: 0
; NumSGPRsForWavesPerEU: 6
; NumVGPRsForWavesPerEU: 1
; AccumOffset: 4
; Occupancy: 8
; WaveLimiterHint : 0
; COMPUTE_PGM_RSRC2:SCRATCH_EN: 0
; COMPUTE_PGM_RSRC2:USER_SGPR: 2
; COMPUTE_PGM_RSRC2:TRAP_HANDLER: 0
; COMPUTE_PGM_RSRC2:TGID_X_EN: 1
; COMPUTE_PGM_RSRC2:TGID_Y_EN: 0
; COMPUTE_PGM_RSRC2:TGID_Z_EN: 0
; COMPUTE_PGM_RSRC2:TIDIG_COMP_CNT: 0
; COMPUTE_PGM_RSRC3_GFX90A:ACCUM_OFFSET: 0
; COMPUTE_PGM_RSRC3_GFX90A:TG_SPLIT: 0
	.section	.text._ZN7rocprim17ROCPRIM_400000_NS6detail17trampoline_kernelINS0_14default_configENS1_25partition_config_selectorILNS1_17partition_subalgoE8EN6thrust23THRUST_200600_302600_NS5tupleIffNS7_9null_typeES9_S9_S9_S9_S9_S9_S9_EENS0_10empty_typeEbEEZZNS1_14partition_implILS5_8ELb0ES3_jNS7_6detail15normal_iteratorINS7_10device_ptrISA_EEEEPSB_PKSB_NS0_5tupleIJSI_SB_EEENSM_IJSJ_SJ_EEENS0_18inequality_wrapperINS7_8equal_toISA_EEEEPmJSB_EEE10hipError_tPvRmT3_T4_T5_T6_T7_T9_mT8_P12ihipStream_tbDpT10_ENKUlT_T0_E_clISt17integral_constantIbLb1EES1D_EEDaS18_S19_EUlS18_E_NS1_11comp_targetILNS1_3genE8ELNS1_11target_archE1030ELNS1_3gpuE2ELNS1_3repE0EEENS1_30default_config_static_selectorELNS0_4arch9wavefront6targetE1EEEvT1_,"axG",@progbits,_ZN7rocprim17ROCPRIM_400000_NS6detail17trampoline_kernelINS0_14default_configENS1_25partition_config_selectorILNS1_17partition_subalgoE8EN6thrust23THRUST_200600_302600_NS5tupleIffNS7_9null_typeES9_S9_S9_S9_S9_S9_S9_EENS0_10empty_typeEbEEZZNS1_14partition_implILS5_8ELb0ES3_jNS7_6detail15normal_iteratorINS7_10device_ptrISA_EEEEPSB_PKSB_NS0_5tupleIJSI_SB_EEENSM_IJSJ_SJ_EEENS0_18inequality_wrapperINS7_8equal_toISA_EEEEPmJSB_EEE10hipError_tPvRmT3_T4_T5_T6_T7_T9_mT8_P12ihipStream_tbDpT10_ENKUlT_T0_E_clISt17integral_constantIbLb1EES1D_EEDaS18_S19_EUlS18_E_NS1_11comp_targetILNS1_3genE8ELNS1_11target_archE1030ELNS1_3gpuE2ELNS1_3repE0EEENS1_30default_config_static_selectorELNS0_4arch9wavefront6targetE1EEEvT1_,comdat
	.protected	_ZN7rocprim17ROCPRIM_400000_NS6detail17trampoline_kernelINS0_14default_configENS1_25partition_config_selectorILNS1_17partition_subalgoE8EN6thrust23THRUST_200600_302600_NS5tupleIffNS7_9null_typeES9_S9_S9_S9_S9_S9_S9_EENS0_10empty_typeEbEEZZNS1_14partition_implILS5_8ELb0ES3_jNS7_6detail15normal_iteratorINS7_10device_ptrISA_EEEEPSB_PKSB_NS0_5tupleIJSI_SB_EEENSM_IJSJ_SJ_EEENS0_18inequality_wrapperINS7_8equal_toISA_EEEEPmJSB_EEE10hipError_tPvRmT3_T4_T5_T6_T7_T9_mT8_P12ihipStream_tbDpT10_ENKUlT_T0_E_clISt17integral_constantIbLb1EES1D_EEDaS18_S19_EUlS18_E_NS1_11comp_targetILNS1_3genE8ELNS1_11target_archE1030ELNS1_3gpuE2ELNS1_3repE0EEENS1_30default_config_static_selectorELNS0_4arch9wavefront6targetE1EEEvT1_ ; -- Begin function _ZN7rocprim17ROCPRIM_400000_NS6detail17trampoline_kernelINS0_14default_configENS1_25partition_config_selectorILNS1_17partition_subalgoE8EN6thrust23THRUST_200600_302600_NS5tupleIffNS7_9null_typeES9_S9_S9_S9_S9_S9_S9_EENS0_10empty_typeEbEEZZNS1_14partition_implILS5_8ELb0ES3_jNS7_6detail15normal_iteratorINS7_10device_ptrISA_EEEEPSB_PKSB_NS0_5tupleIJSI_SB_EEENSM_IJSJ_SJ_EEENS0_18inequality_wrapperINS7_8equal_toISA_EEEEPmJSB_EEE10hipError_tPvRmT3_T4_T5_T6_T7_T9_mT8_P12ihipStream_tbDpT10_ENKUlT_T0_E_clISt17integral_constantIbLb1EES1D_EEDaS18_S19_EUlS18_E_NS1_11comp_targetILNS1_3genE8ELNS1_11target_archE1030ELNS1_3gpuE2ELNS1_3repE0EEENS1_30default_config_static_selectorELNS0_4arch9wavefront6targetE1EEEvT1_
	.globl	_ZN7rocprim17ROCPRIM_400000_NS6detail17trampoline_kernelINS0_14default_configENS1_25partition_config_selectorILNS1_17partition_subalgoE8EN6thrust23THRUST_200600_302600_NS5tupleIffNS7_9null_typeES9_S9_S9_S9_S9_S9_S9_EENS0_10empty_typeEbEEZZNS1_14partition_implILS5_8ELb0ES3_jNS7_6detail15normal_iteratorINS7_10device_ptrISA_EEEEPSB_PKSB_NS0_5tupleIJSI_SB_EEENSM_IJSJ_SJ_EEENS0_18inequality_wrapperINS7_8equal_toISA_EEEEPmJSB_EEE10hipError_tPvRmT3_T4_T5_T6_T7_T9_mT8_P12ihipStream_tbDpT10_ENKUlT_T0_E_clISt17integral_constantIbLb1EES1D_EEDaS18_S19_EUlS18_E_NS1_11comp_targetILNS1_3genE8ELNS1_11target_archE1030ELNS1_3gpuE2ELNS1_3repE0EEENS1_30default_config_static_selectorELNS0_4arch9wavefront6targetE1EEEvT1_
	.p2align	8
	.type	_ZN7rocprim17ROCPRIM_400000_NS6detail17trampoline_kernelINS0_14default_configENS1_25partition_config_selectorILNS1_17partition_subalgoE8EN6thrust23THRUST_200600_302600_NS5tupleIffNS7_9null_typeES9_S9_S9_S9_S9_S9_S9_EENS0_10empty_typeEbEEZZNS1_14partition_implILS5_8ELb0ES3_jNS7_6detail15normal_iteratorINS7_10device_ptrISA_EEEEPSB_PKSB_NS0_5tupleIJSI_SB_EEENSM_IJSJ_SJ_EEENS0_18inequality_wrapperINS7_8equal_toISA_EEEEPmJSB_EEE10hipError_tPvRmT3_T4_T5_T6_T7_T9_mT8_P12ihipStream_tbDpT10_ENKUlT_T0_E_clISt17integral_constantIbLb1EES1D_EEDaS18_S19_EUlS18_E_NS1_11comp_targetILNS1_3genE8ELNS1_11target_archE1030ELNS1_3gpuE2ELNS1_3repE0EEENS1_30default_config_static_selectorELNS0_4arch9wavefront6targetE1EEEvT1_,@function
_ZN7rocprim17ROCPRIM_400000_NS6detail17trampoline_kernelINS0_14default_configENS1_25partition_config_selectorILNS1_17partition_subalgoE8EN6thrust23THRUST_200600_302600_NS5tupleIffNS7_9null_typeES9_S9_S9_S9_S9_S9_S9_EENS0_10empty_typeEbEEZZNS1_14partition_implILS5_8ELb0ES3_jNS7_6detail15normal_iteratorINS7_10device_ptrISA_EEEEPSB_PKSB_NS0_5tupleIJSI_SB_EEENSM_IJSJ_SJ_EEENS0_18inequality_wrapperINS7_8equal_toISA_EEEEPmJSB_EEE10hipError_tPvRmT3_T4_T5_T6_T7_T9_mT8_P12ihipStream_tbDpT10_ENKUlT_T0_E_clISt17integral_constantIbLb1EES1D_EEDaS18_S19_EUlS18_E_NS1_11comp_targetILNS1_3genE8ELNS1_11target_archE1030ELNS1_3gpuE2ELNS1_3repE0EEENS1_30default_config_static_selectorELNS0_4arch9wavefront6targetE1EEEvT1_: ; @_ZN7rocprim17ROCPRIM_400000_NS6detail17trampoline_kernelINS0_14default_configENS1_25partition_config_selectorILNS1_17partition_subalgoE8EN6thrust23THRUST_200600_302600_NS5tupleIffNS7_9null_typeES9_S9_S9_S9_S9_S9_S9_EENS0_10empty_typeEbEEZZNS1_14partition_implILS5_8ELb0ES3_jNS7_6detail15normal_iteratorINS7_10device_ptrISA_EEEEPSB_PKSB_NS0_5tupleIJSI_SB_EEENSM_IJSJ_SJ_EEENS0_18inequality_wrapperINS7_8equal_toISA_EEEEPmJSB_EEE10hipError_tPvRmT3_T4_T5_T6_T7_T9_mT8_P12ihipStream_tbDpT10_ENKUlT_T0_E_clISt17integral_constantIbLb1EES1D_EEDaS18_S19_EUlS18_E_NS1_11comp_targetILNS1_3genE8ELNS1_11target_archE1030ELNS1_3gpuE2ELNS1_3repE0EEENS1_30default_config_static_selectorELNS0_4arch9wavefront6targetE1EEEvT1_
; %bb.0:
	.section	.rodata,"a",@progbits
	.p2align	6, 0x0
	.amdhsa_kernel _ZN7rocprim17ROCPRIM_400000_NS6detail17trampoline_kernelINS0_14default_configENS1_25partition_config_selectorILNS1_17partition_subalgoE8EN6thrust23THRUST_200600_302600_NS5tupleIffNS7_9null_typeES9_S9_S9_S9_S9_S9_S9_EENS0_10empty_typeEbEEZZNS1_14partition_implILS5_8ELb0ES3_jNS7_6detail15normal_iteratorINS7_10device_ptrISA_EEEEPSB_PKSB_NS0_5tupleIJSI_SB_EEENSM_IJSJ_SJ_EEENS0_18inequality_wrapperINS7_8equal_toISA_EEEEPmJSB_EEE10hipError_tPvRmT3_T4_T5_T6_T7_T9_mT8_P12ihipStream_tbDpT10_ENKUlT_T0_E_clISt17integral_constantIbLb1EES1D_EEDaS18_S19_EUlS18_E_NS1_11comp_targetILNS1_3genE8ELNS1_11target_archE1030ELNS1_3gpuE2ELNS1_3repE0EEENS1_30default_config_static_selectorELNS0_4arch9wavefront6targetE1EEEvT1_
		.amdhsa_group_segment_fixed_size 0
		.amdhsa_private_segment_fixed_size 0
		.amdhsa_kernarg_size 128
		.amdhsa_user_sgpr_count 2
		.amdhsa_user_sgpr_dispatch_ptr 0
		.amdhsa_user_sgpr_queue_ptr 0
		.amdhsa_user_sgpr_kernarg_segment_ptr 1
		.amdhsa_user_sgpr_dispatch_id 0
		.amdhsa_user_sgpr_kernarg_preload_length 0
		.amdhsa_user_sgpr_kernarg_preload_offset 0
		.amdhsa_user_sgpr_private_segment_size 0
		.amdhsa_uses_dynamic_stack 0
		.amdhsa_enable_private_segment 0
		.amdhsa_system_sgpr_workgroup_id_x 1
		.amdhsa_system_sgpr_workgroup_id_y 0
		.amdhsa_system_sgpr_workgroup_id_z 0
		.amdhsa_system_sgpr_workgroup_info 0
		.amdhsa_system_vgpr_workitem_id 0
		.amdhsa_next_free_vgpr 1
		.amdhsa_next_free_sgpr 0
		.amdhsa_accum_offset 4
		.amdhsa_reserve_vcc 0
		.amdhsa_float_round_mode_32 0
		.amdhsa_float_round_mode_16_64 0
		.amdhsa_float_denorm_mode_32 3
		.amdhsa_float_denorm_mode_16_64 3
		.amdhsa_dx10_clamp 1
		.amdhsa_ieee_mode 1
		.amdhsa_fp16_overflow 0
		.amdhsa_tg_split 0
		.amdhsa_exception_fp_ieee_invalid_op 0
		.amdhsa_exception_fp_denorm_src 0
		.amdhsa_exception_fp_ieee_div_zero 0
		.amdhsa_exception_fp_ieee_overflow 0
		.amdhsa_exception_fp_ieee_underflow 0
		.amdhsa_exception_fp_ieee_inexact 0
		.amdhsa_exception_int_div_zero 0
	.end_amdhsa_kernel
	.section	.text._ZN7rocprim17ROCPRIM_400000_NS6detail17trampoline_kernelINS0_14default_configENS1_25partition_config_selectorILNS1_17partition_subalgoE8EN6thrust23THRUST_200600_302600_NS5tupleIffNS7_9null_typeES9_S9_S9_S9_S9_S9_S9_EENS0_10empty_typeEbEEZZNS1_14partition_implILS5_8ELb0ES3_jNS7_6detail15normal_iteratorINS7_10device_ptrISA_EEEEPSB_PKSB_NS0_5tupleIJSI_SB_EEENSM_IJSJ_SJ_EEENS0_18inequality_wrapperINS7_8equal_toISA_EEEEPmJSB_EEE10hipError_tPvRmT3_T4_T5_T6_T7_T9_mT8_P12ihipStream_tbDpT10_ENKUlT_T0_E_clISt17integral_constantIbLb1EES1D_EEDaS18_S19_EUlS18_E_NS1_11comp_targetILNS1_3genE8ELNS1_11target_archE1030ELNS1_3gpuE2ELNS1_3repE0EEENS1_30default_config_static_selectorELNS0_4arch9wavefront6targetE1EEEvT1_,"axG",@progbits,_ZN7rocprim17ROCPRIM_400000_NS6detail17trampoline_kernelINS0_14default_configENS1_25partition_config_selectorILNS1_17partition_subalgoE8EN6thrust23THRUST_200600_302600_NS5tupleIffNS7_9null_typeES9_S9_S9_S9_S9_S9_S9_EENS0_10empty_typeEbEEZZNS1_14partition_implILS5_8ELb0ES3_jNS7_6detail15normal_iteratorINS7_10device_ptrISA_EEEEPSB_PKSB_NS0_5tupleIJSI_SB_EEENSM_IJSJ_SJ_EEENS0_18inequality_wrapperINS7_8equal_toISA_EEEEPmJSB_EEE10hipError_tPvRmT3_T4_T5_T6_T7_T9_mT8_P12ihipStream_tbDpT10_ENKUlT_T0_E_clISt17integral_constantIbLb1EES1D_EEDaS18_S19_EUlS18_E_NS1_11comp_targetILNS1_3genE8ELNS1_11target_archE1030ELNS1_3gpuE2ELNS1_3repE0EEENS1_30default_config_static_selectorELNS0_4arch9wavefront6targetE1EEEvT1_,comdat
.Lfunc_end118:
	.size	_ZN7rocprim17ROCPRIM_400000_NS6detail17trampoline_kernelINS0_14default_configENS1_25partition_config_selectorILNS1_17partition_subalgoE8EN6thrust23THRUST_200600_302600_NS5tupleIffNS7_9null_typeES9_S9_S9_S9_S9_S9_S9_EENS0_10empty_typeEbEEZZNS1_14partition_implILS5_8ELb0ES3_jNS7_6detail15normal_iteratorINS7_10device_ptrISA_EEEEPSB_PKSB_NS0_5tupleIJSI_SB_EEENSM_IJSJ_SJ_EEENS0_18inequality_wrapperINS7_8equal_toISA_EEEEPmJSB_EEE10hipError_tPvRmT3_T4_T5_T6_T7_T9_mT8_P12ihipStream_tbDpT10_ENKUlT_T0_E_clISt17integral_constantIbLb1EES1D_EEDaS18_S19_EUlS18_E_NS1_11comp_targetILNS1_3genE8ELNS1_11target_archE1030ELNS1_3gpuE2ELNS1_3repE0EEENS1_30default_config_static_selectorELNS0_4arch9wavefront6targetE1EEEvT1_, .Lfunc_end118-_ZN7rocprim17ROCPRIM_400000_NS6detail17trampoline_kernelINS0_14default_configENS1_25partition_config_selectorILNS1_17partition_subalgoE8EN6thrust23THRUST_200600_302600_NS5tupleIffNS7_9null_typeES9_S9_S9_S9_S9_S9_S9_EENS0_10empty_typeEbEEZZNS1_14partition_implILS5_8ELb0ES3_jNS7_6detail15normal_iteratorINS7_10device_ptrISA_EEEEPSB_PKSB_NS0_5tupleIJSI_SB_EEENSM_IJSJ_SJ_EEENS0_18inequality_wrapperINS7_8equal_toISA_EEEEPmJSB_EEE10hipError_tPvRmT3_T4_T5_T6_T7_T9_mT8_P12ihipStream_tbDpT10_ENKUlT_T0_E_clISt17integral_constantIbLb1EES1D_EEDaS18_S19_EUlS18_E_NS1_11comp_targetILNS1_3genE8ELNS1_11target_archE1030ELNS1_3gpuE2ELNS1_3repE0EEENS1_30default_config_static_selectorELNS0_4arch9wavefront6targetE1EEEvT1_
                                        ; -- End function
	.section	.AMDGPU.csdata,"",@progbits
; Kernel info:
; codeLenInByte = 0
; NumSgprs: 6
; NumVgprs: 0
; NumAgprs: 0
; TotalNumVgprs: 0
; ScratchSize: 0
; MemoryBound: 0
; FloatMode: 240
; IeeeMode: 1
; LDSByteSize: 0 bytes/workgroup (compile time only)
; SGPRBlocks: 0
; VGPRBlocks: 0
; NumSGPRsForWavesPerEU: 6
; NumVGPRsForWavesPerEU: 1
; AccumOffset: 4
; Occupancy: 8
; WaveLimiterHint : 0
; COMPUTE_PGM_RSRC2:SCRATCH_EN: 0
; COMPUTE_PGM_RSRC2:USER_SGPR: 2
; COMPUTE_PGM_RSRC2:TRAP_HANDLER: 0
; COMPUTE_PGM_RSRC2:TGID_X_EN: 1
; COMPUTE_PGM_RSRC2:TGID_Y_EN: 0
; COMPUTE_PGM_RSRC2:TGID_Z_EN: 0
; COMPUTE_PGM_RSRC2:TIDIG_COMP_CNT: 0
; COMPUTE_PGM_RSRC3_GFX90A:ACCUM_OFFSET: 0
; COMPUTE_PGM_RSRC3_GFX90A:TG_SPLIT: 0
	.section	.text._ZN7rocprim17ROCPRIM_400000_NS6detail31init_lookback_scan_state_kernelINS1_19lookback_scan_stateIjLb1ELb1EEENS1_16block_id_wrapperIjLb0EEEEEvT_jT0_jPNS7_10value_typeE,"axG",@progbits,_ZN7rocprim17ROCPRIM_400000_NS6detail31init_lookback_scan_state_kernelINS1_19lookback_scan_stateIjLb1ELb1EEENS1_16block_id_wrapperIjLb0EEEEEvT_jT0_jPNS7_10value_typeE,comdat
	.protected	_ZN7rocprim17ROCPRIM_400000_NS6detail31init_lookback_scan_state_kernelINS1_19lookback_scan_stateIjLb1ELb1EEENS1_16block_id_wrapperIjLb0EEEEEvT_jT0_jPNS7_10value_typeE ; -- Begin function _ZN7rocprim17ROCPRIM_400000_NS6detail31init_lookback_scan_state_kernelINS1_19lookback_scan_stateIjLb1ELb1EEENS1_16block_id_wrapperIjLb0EEEEEvT_jT0_jPNS7_10value_typeE
	.globl	_ZN7rocprim17ROCPRIM_400000_NS6detail31init_lookback_scan_state_kernelINS1_19lookback_scan_stateIjLb1ELb1EEENS1_16block_id_wrapperIjLb0EEEEEvT_jT0_jPNS7_10value_typeE
	.p2align	8
	.type	_ZN7rocprim17ROCPRIM_400000_NS6detail31init_lookback_scan_state_kernelINS1_19lookback_scan_stateIjLb1ELb1EEENS1_16block_id_wrapperIjLb0EEEEEvT_jT0_jPNS7_10value_typeE,@function
_ZN7rocprim17ROCPRIM_400000_NS6detail31init_lookback_scan_state_kernelINS1_19lookback_scan_stateIjLb1ELb1EEENS1_16block_id_wrapperIjLb0EEEEEvT_jT0_jPNS7_10value_typeE: ; @_ZN7rocprim17ROCPRIM_400000_NS6detail31init_lookback_scan_state_kernelINS1_19lookback_scan_stateIjLb1ELb1EEENS1_16block_id_wrapperIjLb0EEEEEvT_jT0_jPNS7_10value_typeE
; %bb.0:
	s_load_dword s3, s[0:1], 0x2c
	s_load_dwordx2 s[6:7], s[0:1], 0x18
	s_load_dwordx2 s[4:5], s[0:1], 0x0
	s_load_dword s8, s[0:1], 0x8
	s_waitcnt lgkmcnt(0)
	s_and_b32 s3, s3, 0xffff
	s_mul_i32 s2, s2, s3
	s_cmp_eq_u64 s[6:7], 0
	v_add_u32_e32 v0, s2, v0
	s_cbranch_scc1 .LBB119_9
; %bb.1:
	s_load_dword s2, s[0:1], 0x10
	s_mov_b32 s3, 0
	s_waitcnt lgkmcnt(0)
	s_cmp_lt_u32 s2, s8
	s_cselect_b32 s0, s2, 0
	v_cmp_eq_u32_e32 vcc, s0, v0
	s_and_saveexec_b64 s[0:1], vcc
	s_cbranch_execz .LBB119_8
; %bb.2:
	s_add_i32 s2, s2, 64
	s_lshl_b64 s[2:3], s[2:3], 3
	s_add_u32 s2, s4, s2
	s_addc_u32 s3, s5, s3
	v_mov_b32_e32 v2, 0
	global_load_dwordx2 v[4:5], v2, s[2:3] sc1
	s_waitcnt vmcnt(0)
	v_and_b32_e32 v3, 0xff, v5
	v_cmp_ne_u64_e32 vcc, 0, v[2:3]
	s_cbranch_vccnz .LBB119_7
; %bb.3:
	s_mov_b32 s9, 1
.LBB119_4:                              ; =>This Loop Header: Depth=1
                                        ;     Child Loop BB119_5 Depth 2
	s_max_u32 s10, s9, 1
.LBB119_5:                              ;   Parent Loop BB119_4 Depth=1
                                        ; =>  This Inner Loop Header: Depth=2
	s_add_i32 s10, s10, -1
	s_cmp_eq_u32 s10, 0
	s_sleep 1
	s_cbranch_scc0 .LBB119_5
; %bb.6:                                ;   in Loop: Header=BB119_4 Depth=1
	global_load_dwordx2 v[4:5], v2, s[2:3] sc1
	s_cmp_lt_u32 s9, 32
	s_cselect_b64 s[10:11], -1, 0
	s_cmp_lg_u64 s[10:11], 0
	s_addc_u32 s9, s9, 0
	s_waitcnt vmcnt(0)
	v_and_b32_e32 v3, 0xff, v5
	v_cmp_ne_u64_e32 vcc, 0, v[2:3]
	s_cbranch_vccz .LBB119_4
.LBB119_7:
	v_mov_b32_e32 v1, 0
	global_store_dword v1, v4, s[6:7]
.LBB119_8:
	s_or_b64 exec, exec, s[0:1]
.LBB119_9:
	v_cmp_gt_u32_e32 vcc, s8, v0
	s_and_saveexec_b64 s[0:1], vcc
	s_cbranch_execnz .LBB119_12
; %bb.10:
	s_or_b64 exec, exec, s[0:1]
	v_cmp_gt_u32_e32 vcc, 64, v0
	s_and_saveexec_b64 s[0:1], vcc
	s_cbranch_execnz .LBB119_13
.LBB119_11:
	s_endpgm
.LBB119_12:
	v_add_u32_e32 v2, 64, v0
	v_mov_b32_e32 v3, 0
	v_lshl_add_u64 v[4:5], v[2:3], 3, s[4:5]
	v_mov_b32_e32 v2, v3
	global_store_dwordx2 v[4:5], v[2:3], off
	s_or_b64 exec, exec, s[0:1]
	v_cmp_gt_u32_e32 vcc, 64, v0
	s_and_saveexec_b64 s[0:1], vcc
	s_cbranch_execz .LBB119_11
.LBB119_13:
	v_mov_b32_e32 v1, 0
	v_lshl_add_u64 v[2:3], v[0:1], 3, s[4:5]
	v_mov_b32_e32 v5, 0xff
	v_mov_b32_e32 v4, v1
	global_store_dwordx2 v[2:3], v[4:5], off
	s_endpgm
	.section	.rodata,"a",@progbits
	.p2align	6, 0x0
	.amdhsa_kernel _ZN7rocprim17ROCPRIM_400000_NS6detail31init_lookback_scan_state_kernelINS1_19lookback_scan_stateIjLb1ELb1EEENS1_16block_id_wrapperIjLb0EEEEEvT_jT0_jPNS7_10value_typeE
		.amdhsa_group_segment_fixed_size 0
		.amdhsa_private_segment_fixed_size 0
		.amdhsa_kernarg_size 288
		.amdhsa_user_sgpr_count 2
		.amdhsa_user_sgpr_dispatch_ptr 0
		.amdhsa_user_sgpr_queue_ptr 0
		.amdhsa_user_sgpr_kernarg_segment_ptr 1
		.amdhsa_user_sgpr_dispatch_id 0
		.amdhsa_user_sgpr_kernarg_preload_length 0
		.amdhsa_user_sgpr_kernarg_preload_offset 0
		.amdhsa_user_sgpr_private_segment_size 0
		.amdhsa_uses_dynamic_stack 0
		.amdhsa_enable_private_segment 0
		.amdhsa_system_sgpr_workgroup_id_x 1
		.amdhsa_system_sgpr_workgroup_id_y 0
		.amdhsa_system_sgpr_workgroup_id_z 0
		.amdhsa_system_sgpr_workgroup_info 0
		.amdhsa_system_vgpr_workitem_id 0
		.amdhsa_next_free_vgpr 6
		.amdhsa_next_free_sgpr 12
		.amdhsa_accum_offset 8
		.amdhsa_reserve_vcc 1
		.amdhsa_float_round_mode_32 0
		.amdhsa_float_round_mode_16_64 0
		.amdhsa_float_denorm_mode_32 3
		.amdhsa_float_denorm_mode_16_64 3
		.amdhsa_dx10_clamp 1
		.amdhsa_ieee_mode 1
		.amdhsa_fp16_overflow 0
		.amdhsa_tg_split 0
		.amdhsa_exception_fp_ieee_invalid_op 0
		.amdhsa_exception_fp_denorm_src 0
		.amdhsa_exception_fp_ieee_div_zero 0
		.amdhsa_exception_fp_ieee_overflow 0
		.amdhsa_exception_fp_ieee_underflow 0
		.amdhsa_exception_fp_ieee_inexact 0
		.amdhsa_exception_int_div_zero 0
	.end_amdhsa_kernel
	.section	.text._ZN7rocprim17ROCPRIM_400000_NS6detail31init_lookback_scan_state_kernelINS1_19lookback_scan_stateIjLb1ELb1EEENS1_16block_id_wrapperIjLb0EEEEEvT_jT0_jPNS7_10value_typeE,"axG",@progbits,_ZN7rocprim17ROCPRIM_400000_NS6detail31init_lookback_scan_state_kernelINS1_19lookback_scan_stateIjLb1ELb1EEENS1_16block_id_wrapperIjLb0EEEEEvT_jT0_jPNS7_10value_typeE,comdat
.Lfunc_end119:
	.size	_ZN7rocprim17ROCPRIM_400000_NS6detail31init_lookback_scan_state_kernelINS1_19lookback_scan_stateIjLb1ELb1EEENS1_16block_id_wrapperIjLb0EEEEEvT_jT0_jPNS7_10value_typeE, .Lfunc_end119-_ZN7rocprim17ROCPRIM_400000_NS6detail31init_lookback_scan_state_kernelINS1_19lookback_scan_stateIjLb1ELb1EEENS1_16block_id_wrapperIjLb0EEEEEvT_jT0_jPNS7_10value_typeE
                                        ; -- End function
	.section	.AMDGPU.csdata,"",@progbits
; Kernel info:
; codeLenInByte = 340
; NumSgprs: 18
; NumVgprs: 6
; NumAgprs: 0
; TotalNumVgprs: 6
; ScratchSize: 0
; MemoryBound: 0
; FloatMode: 240
; IeeeMode: 1
; LDSByteSize: 0 bytes/workgroup (compile time only)
; SGPRBlocks: 2
; VGPRBlocks: 0
; NumSGPRsForWavesPerEU: 18
; NumVGPRsForWavesPerEU: 6
; AccumOffset: 8
; Occupancy: 8
; WaveLimiterHint : 0
; COMPUTE_PGM_RSRC2:SCRATCH_EN: 0
; COMPUTE_PGM_RSRC2:USER_SGPR: 2
; COMPUTE_PGM_RSRC2:TRAP_HANDLER: 0
; COMPUTE_PGM_RSRC2:TGID_X_EN: 1
; COMPUTE_PGM_RSRC2:TGID_Y_EN: 0
; COMPUTE_PGM_RSRC2:TGID_Z_EN: 0
; COMPUTE_PGM_RSRC2:TIDIG_COMP_CNT: 0
; COMPUTE_PGM_RSRC3_GFX90A:ACCUM_OFFSET: 1
; COMPUTE_PGM_RSRC3_GFX90A:TG_SPLIT: 0
	.section	.text._ZN7rocprim17ROCPRIM_400000_NS6detail17trampoline_kernelINS0_14default_configENS1_25partition_config_selectorILNS1_17partition_subalgoE8EN6thrust23THRUST_200600_302600_NS5tupleIffNS7_9null_typeES9_S9_S9_S9_S9_S9_S9_EENS0_10empty_typeEbEEZZNS1_14partition_implILS5_8ELb0ES3_jNS7_6detail15normal_iteratorINS7_10device_ptrISA_EEEEPSB_PKSB_NS0_5tupleIJSI_SB_EEENSM_IJSJ_SJ_EEENS0_18inequality_wrapperINS7_8equal_toISA_EEEEPmJSB_EEE10hipError_tPvRmT3_T4_T5_T6_T7_T9_mT8_P12ihipStream_tbDpT10_ENKUlT_T0_E_clISt17integral_constantIbLb1EES1C_IbLb0EEEEDaS18_S19_EUlS18_E_NS1_11comp_targetILNS1_3genE0ELNS1_11target_archE4294967295ELNS1_3gpuE0ELNS1_3repE0EEENS1_30default_config_static_selectorELNS0_4arch9wavefront6targetE1EEEvT1_,"axG",@progbits,_ZN7rocprim17ROCPRIM_400000_NS6detail17trampoline_kernelINS0_14default_configENS1_25partition_config_selectorILNS1_17partition_subalgoE8EN6thrust23THRUST_200600_302600_NS5tupleIffNS7_9null_typeES9_S9_S9_S9_S9_S9_S9_EENS0_10empty_typeEbEEZZNS1_14partition_implILS5_8ELb0ES3_jNS7_6detail15normal_iteratorINS7_10device_ptrISA_EEEEPSB_PKSB_NS0_5tupleIJSI_SB_EEENSM_IJSJ_SJ_EEENS0_18inequality_wrapperINS7_8equal_toISA_EEEEPmJSB_EEE10hipError_tPvRmT3_T4_T5_T6_T7_T9_mT8_P12ihipStream_tbDpT10_ENKUlT_T0_E_clISt17integral_constantIbLb1EES1C_IbLb0EEEEDaS18_S19_EUlS18_E_NS1_11comp_targetILNS1_3genE0ELNS1_11target_archE4294967295ELNS1_3gpuE0ELNS1_3repE0EEENS1_30default_config_static_selectorELNS0_4arch9wavefront6targetE1EEEvT1_,comdat
	.protected	_ZN7rocprim17ROCPRIM_400000_NS6detail17trampoline_kernelINS0_14default_configENS1_25partition_config_selectorILNS1_17partition_subalgoE8EN6thrust23THRUST_200600_302600_NS5tupleIffNS7_9null_typeES9_S9_S9_S9_S9_S9_S9_EENS0_10empty_typeEbEEZZNS1_14partition_implILS5_8ELb0ES3_jNS7_6detail15normal_iteratorINS7_10device_ptrISA_EEEEPSB_PKSB_NS0_5tupleIJSI_SB_EEENSM_IJSJ_SJ_EEENS0_18inequality_wrapperINS7_8equal_toISA_EEEEPmJSB_EEE10hipError_tPvRmT3_T4_T5_T6_T7_T9_mT8_P12ihipStream_tbDpT10_ENKUlT_T0_E_clISt17integral_constantIbLb1EES1C_IbLb0EEEEDaS18_S19_EUlS18_E_NS1_11comp_targetILNS1_3genE0ELNS1_11target_archE4294967295ELNS1_3gpuE0ELNS1_3repE0EEENS1_30default_config_static_selectorELNS0_4arch9wavefront6targetE1EEEvT1_ ; -- Begin function _ZN7rocprim17ROCPRIM_400000_NS6detail17trampoline_kernelINS0_14default_configENS1_25partition_config_selectorILNS1_17partition_subalgoE8EN6thrust23THRUST_200600_302600_NS5tupleIffNS7_9null_typeES9_S9_S9_S9_S9_S9_S9_EENS0_10empty_typeEbEEZZNS1_14partition_implILS5_8ELb0ES3_jNS7_6detail15normal_iteratorINS7_10device_ptrISA_EEEEPSB_PKSB_NS0_5tupleIJSI_SB_EEENSM_IJSJ_SJ_EEENS0_18inequality_wrapperINS7_8equal_toISA_EEEEPmJSB_EEE10hipError_tPvRmT3_T4_T5_T6_T7_T9_mT8_P12ihipStream_tbDpT10_ENKUlT_T0_E_clISt17integral_constantIbLb1EES1C_IbLb0EEEEDaS18_S19_EUlS18_E_NS1_11comp_targetILNS1_3genE0ELNS1_11target_archE4294967295ELNS1_3gpuE0ELNS1_3repE0EEENS1_30default_config_static_selectorELNS0_4arch9wavefront6targetE1EEEvT1_
	.globl	_ZN7rocprim17ROCPRIM_400000_NS6detail17trampoline_kernelINS0_14default_configENS1_25partition_config_selectorILNS1_17partition_subalgoE8EN6thrust23THRUST_200600_302600_NS5tupleIffNS7_9null_typeES9_S9_S9_S9_S9_S9_S9_EENS0_10empty_typeEbEEZZNS1_14partition_implILS5_8ELb0ES3_jNS7_6detail15normal_iteratorINS7_10device_ptrISA_EEEEPSB_PKSB_NS0_5tupleIJSI_SB_EEENSM_IJSJ_SJ_EEENS0_18inequality_wrapperINS7_8equal_toISA_EEEEPmJSB_EEE10hipError_tPvRmT3_T4_T5_T6_T7_T9_mT8_P12ihipStream_tbDpT10_ENKUlT_T0_E_clISt17integral_constantIbLb1EES1C_IbLb0EEEEDaS18_S19_EUlS18_E_NS1_11comp_targetILNS1_3genE0ELNS1_11target_archE4294967295ELNS1_3gpuE0ELNS1_3repE0EEENS1_30default_config_static_selectorELNS0_4arch9wavefront6targetE1EEEvT1_
	.p2align	8
	.type	_ZN7rocprim17ROCPRIM_400000_NS6detail17trampoline_kernelINS0_14default_configENS1_25partition_config_selectorILNS1_17partition_subalgoE8EN6thrust23THRUST_200600_302600_NS5tupleIffNS7_9null_typeES9_S9_S9_S9_S9_S9_S9_EENS0_10empty_typeEbEEZZNS1_14partition_implILS5_8ELb0ES3_jNS7_6detail15normal_iteratorINS7_10device_ptrISA_EEEEPSB_PKSB_NS0_5tupleIJSI_SB_EEENSM_IJSJ_SJ_EEENS0_18inequality_wrapperINS7_8equal_toISA_EEEEPmJSB_EEE10hipError_tPvRmT3_T4_T5_T6_T7_T9_mT8_P12ihipStream_tbDpT10_ENKUlT_T0_E_clISt17integral_constantIbLb1EES1C_IbLb0EEEEDaS18_S19_EUlS18_E_NS1_11comp_targetILNS1_3genE0ELNS1_11target_archE4294967295ELNS1_3gpuE0ELNS1_3repE0EEENS1_30default_config_static_selectorELNS0_4arch9wavefront6targetE1EEEvT1_,@function
_ZN7rocprim17ROCPRIM_400000_NS6detail17trampoline_kernelINS0_14default_configENS1_25partition_config_selectorILNS1_17partition_subalgoE8EN6thrust23THRUST_200600_302600_NS5tupleIffNS7_9null_typeES9_S9_S9_S9_S9_S9_S9_EENS0_10empty_typeEbEEZZNS1_14partition_implILS5_8ELb0ES3_jNS7_6detail15normal_iteratorINS7_10device_ptrISA_EEEEPSB_PKSB_NS0_5tupleIJSI_SB_EEENSM_IJSJ_SJ_EEENS0_18inequality_wrapperINS7_8equal_toISA_EEEEPmJSB_EEE10hipError_tPvRmT3_T4_T5_T6_T7_T9_mT8_P12ihipStream_tbDpT10_ENKUlT_T0_E_clISt17integral_constantIbLb1EES1C_IbLb0EEEEDaS18_S19_EUlS18_E_NS1_11comp_targetILNS1_3genE0ELNS1_11target_archE4294967295ELNS1_3gpuE0ELNS1_3repE0EEENS1_30default_config_static_selectorELNS0_4arch9wavefront6targetE1EEEvT1_: ; @_ZN7rocprim17ROCPRIM_400000_NS6detail17trampoline_kernelINS0_14default_configENS1_25partition_config_selectorILNS1_17partition_subalgoE8EN6thrust23THRUST_200600_302600_NS5tupleIffNS7_9null_typeES9_S9_S9_S9_S9_S9_S9_EENS0_10empty_typeEbEEZZNS1_14partition_implILS5_8ELb0ES3_jNS7_6detail15normal_iteratorINS7_10device_ptrISA_EEEEPSB_PKSB_NS0_5tupleIJSI_SB_EEENSM_IJSJ_SJ_EEENS0_18inequality_wrapperINS7_8equal_toISA_EEEEPmJSB_EEE10hipError_tPvRmT3_T4_T5_T6_T7_T9_mT8_P12ihipStream_tbDpT10_ENKUlT_T0_E_clISt17integral_constantIbLb1EES1C_IbLb0EEEEDaS18_S19_EUlS18_E_NS1_11comp_targetILNS1_3genE0ELNS1_11target_archE4294967295ELNS1_3gpuE0ELNS1_3repE0EEENS1_30default_config_static_selectorELNS0_4arch9wavefront6targetE1EEEvT1_
; %bb.0:
	.section	.rodata,"a",@progbits
	.p2align	6, 0x0
	.amdhsa_kernel _ZN7rocprim17ROCPRIM_400000_NS6detail17trampoline_kernelINS0_14default_configENS1_25partition_config_selectorILNS1_17partition_subalgoE8EN6thrust23THRUST_200600_302600_NS5tupleIffNS7_9null_typeES9_S9_S9_S9_S9_S9_S9_EENS0_10empty_typeEbEEZZNS1_14partition_implILS5_8ELb0ES3_jNS7_6detail15normal_iteratorINS7_10device_ptrISA_EEEEPSB_PKSB_NS0_5tupleIJSI_SB_EEENSM_IJSJ_SJ_EEENS0_18inequality_wrapperINS7_8equal_toISA_EEEEPmJSB_EEE10hipError_tPvRmT3_T4_T5_T6_T7_T9_mT8_P12ihipStream_tbDpT10_ENKUlT_T0_E_clISt17integral_constantIbLb1EES1C_IbLb0EEEEDaS18_S19_EUlS18_E_NS1_11comp_targetILNS1_3genE0ELNS1_11target_archE4294967295ELNS1_3gpuE0ELNS1_3repE0EEENS1_30default_config_static_selectorELNS0_4arch9wavefront6targetE1EEEvT1_
		.amdhsa_group_segment_fixed_size 0
		.amdhsa_private_segment_fixed_size 0
		.amdhsa_kernarg_size 112
		.amdhsa_user_sgpr_count 2
		.amdhsa_user_sgpr_dispatch_ptr 0
		.amdhsa_user_sgpr_queue_ptr 0
		.amdhsa_user_sgpr_kernarg_segment_ptr 1
		.amdhsa_user_sgpr_dispatch_id 0
		.amdhsa_user_sgpr_kernarg_preload_length 0
		.amdhsa_user_sgpr_kernarg_preload_offset 0
		.amdhsa_user_sgpr_private_segment_size 0
		.amdhsa_uses_dynamic_stack 0
		.amdhsa_enable_private_segment 0
		.amdhsa_system_sgpr_workgroup_id_x 1
		.amdhsa_system_sgpr_workgroup_id_y 0
		.amdhsa_system_sgpr_workgroup_id_z 0
		.amdhsa_system_sgpr_workgroup_info 0
		.amdhsa_system_vgpr_workitem_id 0
		.amdhsa_next_free_vgpr 1
		.amdhsa_next_free_sgpr 0
		.amdhsa_accum_offset 4
		.amdhsa_reserve_vcc 0
		.amdhsa_float_round_mode_32 0
		.amdhsa_float_round_mode_16_64 0
		.amdhsa_float_denorm_mode_32 3
		.amdhsa_float_denorm_mode_16_64 3
		.amdhsa_dx10_clamp 1
		.amdhsa_ieee_mode 1
		.amdhsa_fp16_overflow 0
		.amdhsa_tg_split 0
		.amdhsa_exception_fp_ieee_invalid_op 0
		.amdhsa_exception_fp_denorm_src 0
		.amdhsa_exception_fp_ieee_div_zero 0
		.amdhsa_exception_fp_ieee_overflow 0
		.amdhsa_exception_fp_ieee_underflow 0
		.amdhsa_exception_fp_ieee_inexact 0
		.amdhsa_exception_int_div_zero 0
	.end_amdhsa_kernel
	.section	.text._ZN7rocprim17ROCPRIM_400000_NS6detail17trampoline_kernelINS0_14default_configENS1_25partition_config_selectorILNS1_17partition_subalgoE8EN6thrust23THRUST_200600_302600_NS5tupleIffNS7_9null_typeES9_S9_S9_S9_S9_S9_S9_EENS0_10empty_typeEbEEZZNS1_14partition_implILS5_8ELb0ES3_jNS7_6detail15normal_iteratorINS7_10device_ptrISA_EEEEPSB_PKSB_NS0_5tupleIJSI_SB_EEENSM_IJSJ_SJ_EEENS0_18inequality_wrapperINS7_8equal_toISA_EEEEPmJSB_EEE10hipError_tPvRmT3_T4_T5_T6_T7_T9_mT8_P12ihipStream_tbDpT10_ENKUlT_T0_E_clISt17integral_constantIbLb1EES1C_IbLb0EEEEDaS18_S19_EUlS18_E_NS1_11comp_targetILNS1_3genE0ELNS1_11target_archE4294967295ELNS1_3gpuE0ELNS1_3repE0EEENS1_30default_config_static_selectorELNS0_4arch9wavefront6targetE1EEEvT1_,"axG",@progbits,_ZN7rocprim17ROCPRIM_400000_NS6detail17trampoline_kernelINS0_14default_configENS1_25partition_config_selectorILNS1_17partition_subalgoE8EN6thrust23THRUST_200600_302600_NS5tupleIffNS7_9null_typeES9_S9_S9_S9_S9_S9_S9_EENS0_10empty_typeEbEEZZNS1_14partition_implILS5_8ELb0ES3_jNS7_6detail15normal_iteratorINS7_10device_ptrISA_EEEEPSB_PKSB_NS0_5tupleIJSI_SB_EEENSM_IJSJ_SJ_EEENS0_18inequality_wrapperINS7_8equal_toISA_EEEEPmJSB_EEE10hipError_tPvRmT3_T4_T5_T6_T7_T9_mT8_P12ihipStream_tbDpT10_ENKUlT_T0_E_clISt17integral_constantIbLb1EES1C_IbLb0EEEEDaS18_S19_EUlS18_E_NS1_11comp_targetILNS1_3genE0ELNS1_11target_archE4294967295ELNS1_3gpuE0ELNS1_3repE0EEENS1_30default_config_static_selectorELNS0_4arch9wavefront6targetE1EEEvT1_,comdat
.Lfunc_end120:
	.size	_ZN7rocprim17ROCPRIM_400000_NS6detail17trampoline_kernelINS0_14default_configENS1_25partition_config_selectorILNS1_17partition_subalgoE8EN6thrust23THRUST_200600_302600_NS5tupleIffNS7_9null_typeES9_S9_S9_S9_S9_S9_S9_EENS0_10empty_typeEbEEZZNS1_14partition_implILS5_8ELb0ES3_jNS7_6detail15normal_iteratorINS7_10device_ptrISA_EEEEPSB_PKSB_NS0_5tupleIJSI_SB_EEENSM_IJSJ_SJ_EEENS0_18inequality_wrapperINS7_8equal_toISA_EEEEPmJSB_EEE10hipError_tPvRmT3_T4_T5_T6_T7_T9_mT8_P12ihipStream_tbDpT10_ENKUlT_T0_E_clISt17integral_constantIbLb1EES1C_IbLb0EEEEDaS18_S19_EUlS18_E_NS1_11comp_targetILNS1_3genE0ELNS1_11target_archE4294967295ELNS1_3gpuE0ELNS1_3repE0EEENS1_30default_config_static_selectorELNS0_4arch9wavefront6targetE1EEEvT1_, .Lfunc_end120-_ZN7rocprim17ROCPRIM_400000_NS6detail17trampoline_kernelINS0_14default_configENS1_25partition_config_selectorILNS1_17partition_subalgoE8EN6thrust23THRUST_200600_302600_NS5tupleIffNS7_9null_typeES9_S9_S9_S9_S9_S9_S9_EENS0_10empty_typeEbEEZZNS1_14partition_implILS5_8ELb0ES3_jNS7_6detail15normal_iteratorINS7_10device_ptrISA_EEEEPSB_PKSB_NS0_5tupleIJSI_SB_EEENSM_IJSJ_SJ_EEENS0_18inequality_wrapperINS7_8equal_toISA_EEEEPmJSB_EEE10hipError_tPvRmT3_T4_T5_T6_T7_T9_mT8_P12ihipStream_tbDpT10_ENKUlT_T0_E_clISt17integral_constantIbLb1EES1C_IbLb0EEEEDaS18_S19_EUlS18_E_NS1_11comp_targetILNS1_3genE0ELNS1_11target_archE4294967295ELNS1_3gpuE0ELNS1_3repE0EEENS1_30default_config_static_selectorELNS0_4arch9wavefront6targetE1EEEvT1_
                                        ; -- End function
	.section	.AMDGPU.csdata,"",@progbits
; Kernel info:
; codeLenInByte = 0
; NumSgprs: 6
; NumVgprs: 0
; NumAgprs: 0
; TotalNumVgprs: 0
; ScratchSize: 0
; MemoryBound: 0
; FloatMode: 240
; IeeeMode: 1
; LDSByteSize: 0 bytes/workgroup (compile time only)
; SGPRBlocks: 0
; VGPRBlocks: 0
; NumSGPRsForWavesPerEU: 6
; NumVGPRsForWavesPerEU: 1
; AccumOffset: 4
; Occupancy: 8
; WaveLimiterHint : 0
; COMPUTE_PGM_RSRC2:SCRATCH_EN: 0
; COMPUTE_PGM_RSRC2:USER_SGPR: 2
; COMPUTE_PGM_RSRC2:TRAP_HANDLER: 0
; COMPUTE_PGM_RSRC2:TGID_X_EN: 1
; COMPUTE_PGM_RSRC2:TGID_Y_EN: 0
; COMPUTE_PGM_RSRC2:TGID_Z_EN: 0
; COMPUTE_PGM_RSRC2:TIDIG_COMP_CNT: 0
; COMPUTE_PGM_RSRC3_GFX90A:ACCUM_OFFSET: 0
; COMPUTE_PGM_RSRC3_GFX90A:TG_SPLIT: 0
	.section	.text._ZN7rocprim17ROCPRIM_400000_NS6detail17trampoline_kernelINS0_14default_configENS1_25partition_config_selectorILNS1_17partition_subalgoE8EN6thrust23THRUST_200600_302600_NS5tupleIffNS7_9null_typeES9_S9_S9_S9_S9_S9_S9_EENS0_10empty_typeEbEEZZNS1_14partition_implILS5_8ELb0ES3_jNS7_6detail15normal_iteratorINS7_10device_ptrISA_EEEEPSB_PKSB_NS0_5tupleIJSI_SB_EEENSM_IJSJ_SJ_EEENS0_18inequality_wrapperINS7_8equal_toISA_EEEEPmJSB_EEE10hipError_tPvRmT3_T4_T5_T6_T7_T9_mT8_P12ihipStream_tbDpT10_ENKUlT_T0_E_clISt17integral_constantIbLb1EES1C_IbLb0EEEEDaS18_S19_EUlS18_E_NS1_11comp_targetILNS1_3genE5ELNS1_11target_archE942ELNS1_3gpuE9ELNS1_3repE0EEENS1_30default_config_static_selectorELNS0_4arch9wavefront6targetE1EEEvT1_,"axG",@progbits,_ZN7rocprim17ROCPRIM_400000_NS6detail17trampoline_kernelINS0_14default_configENS1_25partition_config_selectorILNS1_17partition_subalgoE8EN6thrust23THRUST_200600_302600_NS5tupleIffNS7_9null_typeES9_S9_S9_S9_S9_S9_S9_EENS0_10empty_typeEbEEZZNS1_14partition_implILS5_8ELb0ES3_jNS7_6detail15normal_iteratorINS7_10device_ptrISA_EEEEPSB_PKSB_NS0_5tupleIJSI_SB_EEENSM_IJSJ_SJ_EEENS0_18inequality_wrapperINS7_8equal_toISA_EEEEPmJSB_EEE10hipError_tPvRmT3_T4_T5_T6_T7_T9_mT8_P12ihipStream_tbDpT10_ENKUlT_T0_E_clISt17integral_constantIbLb1EES1C_IbLb0EEEEDaS18_S19_EUlS18_E_NS1_11comp_targetILNS1_3genE5ELNS1_11target_archE942ELNS1_3gpuE9ELNS1_3repE0EEENS1_30default_config_static_selectorELNS0_4arch9wavefront6targetE1EEEvT1_,comdat
	.protected	_ZN7rocprim17ROCPRIM_400000_NS6detail17trampoline_kernelINS0_14default_configENS1_25partition_config_selectorILNS1_17partition_subalgoE8EN6thrust23THRUST_200600_302600_NS5tupleIffNS7_9null_typeES9_S9_S9_S9_S9_S9_S9_EENS0_10empty_typeEbEEZZNS1_14partition_implILS5_8ELb0ES3_jNS7_6detail15normal_iteratorINS7_10device_ptrISA_EEEEPSB_PKSB_NS0_5tupleIJSI_SB_EEENSM_IJSJ_SJ_EEENS0_18inequality_wrapperINS7_8equal_toISA_EEEEPmJSB_EEE10hipError_tPvRmT3_T4_T5_T6_T7_T9_mT8_P12ihipStream_tbDpT10_ENKUlT_T0_E_clISt17integral_constantIbLb1EES1C_IbLb0EEEEDaS18_S19_EUlS18_E_NS1_11comp_targetILNS1_3genE5ELNS1_11target_archE942ELNS1_3gpuE9ELNS1_3repE0EEENS1_30default_config_static_selectorELNS0_4arch9wavefront6targetE1EEEvT1_ ; -- Begin function _ZN7rocprim17ROCPRIM_400000_NS6detail17trampoline_kernelINS0_14default_configENS1_25partition_config_selectorILNS1_17partition_subalgoE8EN6thrust23THRUST_200600_302600_NS5tupleIffNS7_9null_typeES9_S9_S9_S9_S9_S9_S9_EENS0_10empty_typeEbEEZZNS1_14partition_implILS5_8ELb0ES3_jNS7_6detail15normal_iteratorINS7_10device_ptrISA_EEEEPSB_PKSB_NS0_5tupleIJSI_SB_EEENSM_IJSJ_SJ_EEENS0_18inequality_wrapperINS7_8equal_toISA_EEEEPmJSB_EEE10hipError_tPvRmT3_T4_T5_T6_T7_T9_mT8_P12ihipStream_tbDpT10_ENKUlT_T0_E_clISt17integral_constantIbLb1EES1C_IbLb0EEEEDaS18_S19_EUlS18_E_NS1_11comp_targetILNS1_3genE5ELNS1_11target_archE942ELNS1_3gpuE9ELNS1_3repE0EEENS1_30default_config_static_selectorELNS0_4arch9wavefront6targetE1EEEvT1_
	.globl	_ZN7rocprim17ROCPRIM_400000_NS6detail17trampoline_kernelINS0_14default_configENS1_25partition_config_selectorILNS1_17partition_subalgoE8EN6thrust23THRUST_200600_302600_NS5tupleIffNS7_9null_typeES9_S9_S9_S9_S9_S9_S9_EENS0_10empty_typeEbEEZZNS1_14partition_implILS5_8ELb0ES3_jNS7_6detail15normal_iteratorINS7_10device_ptrISA_EEEEPSB_PKSB_NS0_5tupleIJSI_SB_EEENSM_IJSJ_SJ_EEENS0_18inequality_wrapperINS7_8equal_toISA_EEEEPmJSB_EEE10hipError_tPvRmT3_T4_T5_T6_T7_T9_mT8_P12ihipStream_tbDpT10_ENKUlT_T0_E_clISt17integral_constantIbLb1EES1C_IbLb0EEEEDaS18_S19_EUlS18_E_NS1_11comp_targetILNS1_3genE5ELNS1_11target_archE942ELNS1_3gpuE9ELNS1_3repE0EEENS1_30default_config_static_selectorELNS0_4arch9wavefront6targetE1EEEvT1_
	.p2align	8
	.type	_ZN7rocprim17ROCPRIM_400000_NS6detail17trampoline_kernelINS0_14default_configENS1_25partition_config_selectorILNS1_17partition_subalgoE8EN6thrust23THRUST_200600_302600_NS5tupleIffNS7_9null_typeES9_S9_S9_S9_S9_S9_S9_EENS0_10empty_typeEbEEZZNS1_14partition_implILS5_8ELb0ES3_jNS7_6detail15normal_iteratorINS7_10device_ptrISA_EEEEPSB_PKSB_NS0_5tupleIJSI_SB_EEENSM_IJSJ_SJ_EEENS0_18inequality_wrapperINS7_8equal_toISA_EEEEPmJSB_EEE10hipError_tPvRmT3_T4_T5_T6_T7_T9_mT8_P12ihipStream_tbDpT10_ENKUlT_T0_E_clISt17integral_constantIbLb1EES1C_IbLb0EEEEDaS18_S19_EUlS18_E_NS1_11comp_targetILNS1_3genE5ELNS1_11target_archE942ELNS1_3gpuE9ELNS1_3repE0EEENS1_30default_config_static_selectorELNS0_4arch9wavefront6targetE1EEEvT1_,@function
_ZN7rocprim17ROCPRIM_400000_NS6detail17trampoline_kernelINS0_14default_configENS1_25partition_config_selectorILNS1_17partition_subalgoE8EN6thrust23THRUST_200600_302600_NS5tupleIffNS7_9null_typeES9_S9_S9_S9_S9_S9_S9_EENS0_10empty_typeEbEEZZNS1_14partition_implILS5_8ELb0ES3_jNS7_6detail15normal_iteratorINS7_10device_ptrISA_EEEEPSB_PKSB_NS0_5tupleIJSI_SB_EEENSM_IJSJ_SJ_EEENS0_18inequality_wrapperINS7_8equal_toISA_EEEEPmJSB_EEE10hipError_tPvRmT3_T4_T5_T6_T7_T9_mT8_P12ihipStream_tbDpT10_ENKUlT_T0_E_clISt17integral_constantIbLb1EES1C_IbLb0EEEEDaS18_S19_EUlS18_E_NS1_11comp_targetILNS1_3genE5ELNS1_11target_archE942ELNS1_3gpuE9ELNS1_3repE0EEENS1_30default_config_static_selectorELNS0_4arch9wavefront6targetE1EEEvT1_: ; @_ZN7rocprim17ROCPRIM_400000_NS6detail17trampoline_kernelINS0_14default_configENS1_25partition_config_selectorILNS1_17partition_subalgoE8EN6thrust23THRUST_200600_302600_NS5tupleIffNS7_9null_typeES9_S9_S9_S9_S9_S9_S9_EENS0_10empty_typeEbEEZZNS1_14partition_implILS5_8ELb0ES3_jNS7_6detail15normal_iteratorINS7_10device_ptrISA_EEEEPSB_PKSB_NS0_5tupleIJSI_SB_EEENSM_IJSJ_SJ_EEENS0_18inequality_wrapperINS7_8equal_toISA_EEEEPmJSB_EEE10hipError_tPvRmT3_T4_T5_T6_T7_T9_mT8_P12ihipStream_tbDpT10_ENKUlT_T0_E_clISt17integral_constantIbLb1EES1C_IbLb0EEEEDaS18_S19_EUlS18_E_NS1_11comp_targetILNS1_3genE5ELNS1_11target_archE942ELNS1_3gpuE9ELNS1_3repE0EEENS1_30default_config_static_selectorELNS0_4arch9wavefront6targetE1EEEvT1_
; %bb.0:
	s_load_dwordx2 s[8:9], s[0:1], 0x50
	s_load_dwordx4 s[4:7], s[0:1], 0x8
	s_load_dwordx4 s[28:31], s[0:1], 0x40
	s_load_dword s3, s[0:1], 0x68
	s_waitcnt lgkmcnt(0)
	v_mov_b32_e32 v3, s9
	s_lshl_b64 s[10:11], s[6:7], 3
	s_add_u32 s10, s4, s10
	s_mul_i32 s9, s3, 0xe00
	s_addc_u32 s11, s5, s11
	s_add_i32 s4, s3, -1
	s_add_i32 s3, s9, s6
	s_sub_i32 s3, s8, s3
	v_mov_b32_e32 v2, s8
	s_add_u32 s8, s6, s9
	s_addc_u32 s9, s7, 0
	s_cmp_eq_u32 s2, s4
	s_load_dwordx2 s[30:31], s[30:31], 0x0
	s_cselect_b64 s[34:35], -1, 0
	v_cmp_ge_u64_e32 vcc, s[8:9], v[2:3]
	s_mov_b32 s5, 0
	s_mul_i32 s4, s2, 0xe00
	s_and_b64 s[38:39], s[34:35], vcc
	s_xor_b64 s[36:37], s[38:39], -1
	s_lshl_b64 s[4:5], s[4:5], 3
	s_add_u32 s4, s10, s4
	s_mov_b64 s[8:9], -1
	s_addc_u32 s5, s11, s5
	s_and_b64 vcc, exec, s[36:37]
	s_cbranch_vccz .LBB121_2
; %bb.1:
	v_lshlrev_b32_e32 v2, 3, v0
	v_mov_b32_e32 v3, 0
	v_lshl_add_u64 v[4:5], s[4:5], 0, v[2:3]
	v_add_co_u32_e32 v6, vcc, 0x1000, v4
	s_mov_b64 s[8:9], 0
	s_nop 0
	v_addc_co_u32_e32 v7, vcc, 0, v5, vcc
	v_add_co_u32_e32 v8, vcc, 0x2000, v4
	s_nop 1
	v_addc_co_u32_e32 v9, vcc, 0, v5, vcc
	v_add_co_u32_e32 v10, vcc, 0x3000, v4
	s_nop 1
	v_addc_co_u32_e32 v11, vcc, 0, v5, vcc
	flat_load_dwordx2 v[12:13], v[4:5]
	flat_load_dwordx2 v[14:15], v[6:7]
	;; [unrolled: 1-line block ×4, first 2 shown]
	v_add_co_u32_e32 v6, vcc, 0x4000, v4
	s_nop 1
	v_addc_co_u32_e32 v7, vcc, 0, v5, vcc
	v_add_co_u32_e32 v8, vcc, 0x5000, v4
	s_nop 1
	v_addc_co_u32_e32 v9, vcc, 0, v5, vcc
	v_add_co_u32_e32 v4, vcc, 0x6000, v4
	s_nop 1
	v_addc_co_u32_e32 v5, vcc, 0, v5, vcc
	flat_load_dwordx2 v[10:11], v[6:7]
	flat_load_dwordx2 v[20:21], v[8:9]
	;; [unrolled: 1-line block ×3, first 2 shown]
	s_waitcnt vmcnt(0) lgkmcnt(0)
	ds_write2st64_b64 v2, v[12:13], v[14:15] offset1:8
	ds_write2st64_b64 v2, v[16:17], v[18:19] offset0:16 offset1:24
	ds_write2st64_b64 v2, v[10:11], v[20:21] offset0:32 offset1:40
	ds_write_b64 v2, v[22:23] offset:24576
	s_waitcnt lgkmcnt(0)
	s_barrier
.LBB121_2:
	s_andn2_b64 vcc, exec, s[8:9]
	s_addk_i32 s3, 0xe00
	s_cbranch_vccnz .LBB121_18
; %bb.3:
	v_cmp_gt_u32_e32 vcc, s3, v0
	v_mov_b32_e32 v2, 0
	v_mov_b32_e32 v4, 0
	v_mov_b32_e32 v5, 0
	s_and_saveexec_b64 s[8:9], vcc
	s_cbranch_execz .LBB121_5
; %bb.4:
	v_lshlrev_b32_e32 v4, 3, v0
	v_mov_b32_e32 v5, 0
	v_lshl_add_u64 v[4:5], s[4:5], 0, v[4:5]
	flat_load_dwordx2 v[4:5], v[4:5]
.LBB121_5:
	s_or_b64 exec, exec, s[8:9]
	v_or_b32_e32 v1, 0x200, v0
	v_cmp_gt_u32_e32 vcc, s3, v1
	v_mov_b32_e32 v3, 0
	s_and_saveexec_b64 s[8:9], vcc
	s_cbranch_execz .LBB121_7
; %bb.6:
	v_lshlrev_b32_e32 v2, 3, v1
	v_mov_b32_e32 v3, 0
	v_lshl_add_u64 v[2:3], s[4:5], 0, v[2:3]
	flat_load_dwordx2 v[2:3], v[2:3]
.LBB121_7:
	s_or_b64 exec, exec, s[8:9]
	v_or_b32_e32 v1, 0x400, v0
	v_cmp_gt_u32_e32 vcc, s3, v1
	v_mov_b32_e32 v6, 0
	v_mov_b32_e32 v8, 0
	v_mov_b32_e32 v9, 0
	s_and_saveexec_b64 s[8:9], vcc
	s_cbranch_execz .LBB121_9
; %bb.8:
	v_lshlrev_b32_e32 v8, 3, v1
	v_mov_b32_e32 v9, 0
	v_lshl_add_u64 v[8:9], s[4:5], 0, v[8:9]
	flat_load_dwordx2 v[8:9], v[8:9]
.LBB121_9:
	s_or_b64 exec, exec, s[8:9]
	v_or_b32_e32 v1, 0x600, v0
	v_cmp_gt_u32_e32 vcc, s3, v1
	v_mov_b32_e32 v7, 0
	s_and_saveexec_b64 s[8:9], vcc
	s_cbranch_execz .LBB121_11
; %bb.10:
	v_lshlrev_b32_e32 v6, 3, v1
	v_mov_b32_e32 v7, 0
	v_lshl_add_u64 v[6:7], s[4:5], 0, v[6:7]
	flat_load_dwordx2 v[6:7], v[6:7]
.LBB121_11:
	s_or_b64 exec, exec, s[8:9]
	v_or_b32_e32 v1, 0x800, v0
	;; [unrolled: 26-line block ×3, first 2 shown]
	v_cmp_gt_u32_e32 vcc, s3, v1
	v_mov_b32_e32 v14, 0
	v_mov_b32_e32 v15, 0
	s_and_saveexec_b64 s[8:9], vcc
	s_cbranch_execz .LBB121_17
; %bb.16:
	v_lshlrev_b32_e32 v14, 3, v1
	v_mov_b32_e32 v15, 0
	v_lshl_add_u64 v[14:15], s[4:5], 0, v[14:15]
	flat_load_dwordx2 v[14:15], v[14:15]
.LBB121_17:
	s_or_b64 exec, exec, s[8:9]
	v_lshlrev_b32_e32 v1, 3, v0
	s_waitcnt vmcnt(0) lgkmcnt(0)
	ds_write2st64_b64 v1, v[4:5], v[2:3] offset1:8
	ds_write2st64_b64 v1, v[8:9], v[6:7] offset0:16 offset1:24
	ds_write2st64_b64 v1, v[12:13], v[10:11] offset0:32 offset1:40
	ds_write_b64 v1, v[14:15] offset:24576
	s_waitcnt lgkmcnt(0)
	s_barrier
.LBB121_18:
	v_mul_u32_u24_e32 v20, 7, v0
	v_lshlrev_b32_e32 v1, 3, v20
	s_waitcnt lgkmcnt(0)
	ds_read2_b64 v[10:13], v1 offset1:1
	ds_read2_b64 v[6:9], v1 offset0:2 offset1:3
	ds_read2_b64 v[2:5], v1 offset0:4 offset1:5
	ds_read_b64 v[14:15], v1 offset:48
	s_cmp_lg_u32 s2, 0
	s_cselect_b64 s[40:41], -1, 0
	s_cmp_lg_u64 s[6:7], 0
	s_cselect_b64 s[6:7], -1, 0
	s_or_b64 s[6:7], s[40:41], s[6:7]
	v_mad_u32_u24 v22, v0, 7, 1
	v_mad_u32_u24 v21, v0, 7, 2
	;; [unrolled: 1-line block ×6, first 2 shown]
	s_mov_b64 s[42:43], 0
	s_and_b64 vcc, exec, s[6:7]
	s_waitcnt lgkmcnt(0)
	s_barrier
	s_cbranch_vccz .LBB121_23
; %bb.19:
	v_mov_b32_e32 v17, s5
	v_add_co_u32_e64 v16, vcc, -8, s4
	v_lshlrev_b32_e32 v30, 3, v0
	s_nop 0
	v_addc_co_u32_e32 v17, vcc, -1, v17, vcc
	flat_load_dwordx2 v[16:17], v[16:17]
	s_and_b64 vcc, exec, s[36:37]
	ds_write_b64 v30, v[14:15]
	s_cbranch_vccz .LBB121_25
; %bb.20:
	v_cmp_ne_u32_e32 vcc, 0, v0
	s_waitcnt vmcnt(0) lgkmcnt(0)
	v_mov_b64_e32 v[18:19], v[16:17]
	s_barrier
	s_and_saveexec_b64 s[4:5], vcc
	s_cbranch_execz .LBB121_22
; %bb.21:
	v_add_u32_e32 v18, -8, v30
	ds_read_b64 v[18:19], v18
.LBB121_22:
	s_or_b64 exec, exec, s[4:5]
	v_cmp_neq_f32_e32 vcc, v4, v14
	v_cmp_neq_f32_e64 s[4:5], v5, v15
	s_or_b64 s[4:5], vcc, s[4:5]
	v_cmp_neq_f32_e32 vcc, v2, v4
	v_cndmask_b32_e64 v29, 0, 1, s[4:5]
	v_cmp_neq_f32_e64 s[4:5], v3, v5
	s_or_b64 s[4:5], vcc, s[4:5]
	v_cmp_neq_f32_e32 vcc, v8, v2
	v_cndmask_b32_e64 v27, 0, 1, s[4:5]
	;; [unrolled: 4-line block ×5, first 2 shown]
	v_cmp_neq_f32_e64 s[4:5], v11, v13
	s_or_b64 s[4:5], vcc, s[4:5]
	s_waitcnt lgkmcnt(0)
	v_cmp_neq_f32_e32 vcc, v18, v10
	v_cndmask_b32_e64 v33, 0, 1, s[4:5]
	v_lshlrev_b16_e32 v18, 8, v31
	v_cmp_neq_f32_e64 s[4:5], v19, v11
	v_or_b32_sdwa v18, v32, v18 dst_sel:WORD_1 dst_unused:UNUSED_PAD src0_sel:DWORD src1_sel:DWORD
	v_lshlrev_b16_e32 v19, 8, v33
	s_or_b64 s[4:5], vcc, s[4:5]
	v_or_b32_e32 v18, v19, v18
	s_branch .LBB121_29
.LBB121_23:
                                        ; implicit-def: $sgpr4_sgpr5
                                        ; implicit-def: $vgpr29
                                        ; implicit-def: $vgpr27
                                        ; implicit-def: $vgpr28
                                        ; implicit-def: $vgpr18
	s_branch .LBB121_30
.LBB121_24:
                                        ; implicit-def: $vgpr16_vgpr17
	s_and_saveexec_b64 s[6:7], s[42:43]
	s_cbranch_execnz .LBB121_38
	s_branch .LBB121_39
.LBB121_25:
                                        ; implicit-def: $sgpr4_sgpr5
                                        ; implicit-def: $vgpr29
                                        ; implicit-def: $vgpr27
                                        ; implicit-def: $vgpr28
                                        ; implicit-def: $vgpr18
	s_cbranch_execz .LBB121_29
; %bb.26:
	v_cmp_ne_u32_e32 vcc, 0, v0
	s_waitcnt lgkmcnt(0)
	s_barrier
	s_and_saveexec_b64 s[4:5], vcc
	s_cbranch_execz .LBB121_28
; %bb.27:
	s_waitcnt vmcnt(0)
	v_add_u32_e32 v16, -8, v30
	ds_read_b64 v[16:17], v16
.LBB121_28:
	s_or_b64 exec, exec, s[4:5]
	v_cmp_neq_f32_e64 s[4:5], v4, v14
	v_cmp_neq_f32_e64 s[6:7], v5, v15
	v_cmp_gt_u32_e32 vcc, s3, v24
	s_or_b64 s[4:5], s[4:5], s[6:7]
	s_and_b64 s[4:5], vcc, s[4:5]
	v_cndmask_b32_e64 v29, 0, 1, s[4:5]
	v_cmp_neq_f32_e64 s[4:5], v2, v4
	v_cmp_neq_f32_e64 s[6:7], v3, v5
	v_cmp_gt_u32_e32 vcc, s3, v26
	s_or_b64 s[4:5], s[4:5], s[6:7]
	s_and_b64 s[4:5], vcc, s[4:5]
	v_cndmask_b32_e64 v27, 0, 1, s[4:5]
	;; [unrolled: 6-line block ×6, first 2 shown]
	s_waitcnt vmcnt(0) lgkmcnt(0)
	v_cmp_neq_f32_e64 s[4:5], v16, v10
	v_cmp_neq_f32_e64 s[6:7], v17, v11
	v_lshlrev_b16_e32 v16, 8, v18
	v_cmp_gt_u32_e32 vcc, s3, v20
	s_or_b64 s[4:5], s[4:5], s[6:7]
	v_or_b32_sdwa v16, v19, v16 dst_sel:WORD_1 dst_unused:UNUSED_PAD src0_sel:DWORD src1_sel:DWORD
	v_lshlrev_b16_e32 v17, 8, v30
	s_and_b64 s[4:5], vcc, s[4:5]
	v_or_b32_e32 v18, v17, v16
.LBB121_29:
	s_mov_b64 s[42:43], -1
	s_cbranch_execnz .LBB121_24
.LBB121_30:
	s_movk_i32 s4, 0xffd0
	v_mad_i32_i24 v19, v0, s4, v1
	s_and_b64 vcc, exec, s[36:37]
	v_cmp_neq_f32_e64 s[26:27], v4, v14
	v_cmp_neq_f32_e64 s[4:5], v5, v15
	;; [unrolled: 1-line block ×12, first 2 shown]
	ds_write_b64 v19, v[14:15]
	s_cbranch_vccz .LBB121_34
; %bb.31:
	s_or_b64 s[6:7], s[6:7], s[16:17]
	v_cndmask_b32_e64 v27, 0, 1, s[6:7]
	s_or_b64 s[6:7], s[8:9], s[18:19]
	v_cndmask_b32_e64 v28, 0, 1, s[6:7]
	s_or_b64 s[6:7], s[10:11], s[20:21]
	s_waitcnt vmcnt(0) lgkmcnt(0)
	v_cndmask_b32_e64 v16, 0, 1, s[6:7]
	s_or_b64 s[6:7], s[12:13], s[22:23]
	v_cndmask_b32_e64 v18, 0, 1, s[6:7]
	s_or_b64 s[6:7], s[14:15], s[24:25]
	v_cndmask_b32_e64 v30, 0, 1, s[6:7]
	v_lshlrev_b16_e32 v17, 8, v27
	v_lshlrev_b16_e32 v16, 8, v16
	v_or_b32_e32 v17, v28, v17
	s_or_b64 s[4:5], s[26:27], s[4:5]
	v_or_b32_sdwa v16, v18, v16 dst_sel:WORD_1 dst_unused:UNUSED_PAD src0_sel:DWORD src1_sel:DWORD
	v_lshlrev_b16_e32 v18, 8, v30
	v_and_b32_e32 v17, 0xffff, v17
	v_cndmask_b32_e64 v29, 0, 1, s[4:5]
	v_or_b32_e32 v18, 1, v18
	v_lshl_or_b32 v17, v29, 16, v17
	v_or_b32_sdwa v16, v18, v16 dst_sel:DWORD dst_unused:UNUSED_PAD src0_sel:WORD_0 src1_sel:DWORD
	v_cmp_ne_u32_e32 vcc, 0, v0
	s_barrier
	s_waitcnt lgkmcnt(0)
                                        ; implicit-def: $sgpr4_sgpr5
                                        ; implicit-def: $vgpr18
	s_and_saveexec_b64 s[6:7], vcc
	s_xor_b64 s[6:7], exec, s[6:7]
	s_cbranch_execz .LBB121_33
; %bb.32:
	v_add_u32_e32 v17, -8, v19
	ds_read_b64 v[30:31], v17
	s_mov_b32 s4, 0x3020104
	v_perm_b32 v18, v16, v16, s4
	s_or_b64 s[42:43], s[42:43], exec
                                        ; implicit-def: $vgpr16_vgpr17
	s_waitcnt lgkmcnt(0)
	v_cmp_neq_f32_e32 vcc, v30, v10
	v_cmp_neq_f32_e64 s[4:5], v31, v11
	s_or_b64 s[4:5], vcc, s[4:5]
	s_and_b64 s[4:5], s[4:5], exec
.LBB121_33:
	s_or_b64 exec, exec, s[6:7]
	s_branch .LBB121_37
.LBB121_34:
                                        ; implicit-def: $sgpr4_sgpr5
                                        ; implicit-def: $vgpr29
                                        ; implicit-def: $vgpr27
                                        ; implicit-def: $vgpr28
                                        ; implicit-def: $vgpr18
                                        ; implicit-def: $vgpr16_vgpr17
	s_cbranch_execz .LBB121_37
; %bb.35:
	v_cmp_neq_f32_e64 s[4:5], v4, v14
	v_cmp_neq_f32_e64 s[6:7], v5, v15
	s_or_b64 s[10:11], s[4:5], s[6:7]
	v_cmp_neq_f32_e64 s[6:7], v2, v4
	v_cmp_neq_f32_e64 s[8:9], v3, v5
	v_cmp_gt_u32_e64 s[4:5], s3, v26
	s_or_b64 s[6:7], s[6:7], s[8:9]
	s_and_b64 s[4:5], s[4:5], s[6:7]
	v_cmp_neq_f32_e64 s[6:7], v8, v2
	v_cmp_neq_f32_e64 s[8:9], v9, v3
	v_cndmask_b32_e64 v27, 0, 1, s[4:5]
	v_cmp_gt_u32_e64 s[4:5], s3, v23
	s_or_b64 s[6:7], s[6:7], s[8:9]
	s_and_b64 s[4:5], s[4:5], s[6:7]
	v_cmp_neq_f32_e64 s[6:7], v6, v8
	v_cmp_neq_f32_e64 s[8:9], v7, v9
	v_cndmask_b32_e64 v28, 0, 1, s[4:5]
	v_cmp_gt_u32_e64 s[4:5], s3, v25
	s_or_b64 s[6:7], s[6:7], s[8:9]
	s_and_b64 s[4:5], s[4:5], s[6:7]
	v_cmp_neq_f32_e64 s[6:7], v12, v6
	v_cmp_neq_f32_e64 s[8:9], v13, v7
	s_waitcnt vmcnt(0) lgkmcnt(0)
	v_cndmask_b32_e64 v16, 0, 1, s[4:5]
	v_cmp_gt_u32_e64 s[4:5], s3, v21
	s_or_b64 s[6:7], s[6:7], s[8:9]
	s_and_b64 s[4:5], s[4:5], s[6:7]
	v_cmp_neq_f32_e64 s[6:7], v10, v12
	v_cmp_neq_f32_e64 s[8:9], v11, v13
	v_cndmask_b32_e64 v18, 0, 1, s[4:5]
	v_cmp_gt_u32_e64 s[4:5], s3, v22
	s_or_b64 s[6:7], s[6:7], s[8:9]
	s_and_b64 s[4:5], s[4:5], s[6:7]
	v_cmp_gt_u32_e32 vcc, s3, v24
	v_cndmask_b32_e64 v30, 0, 1, s[4:5]
	v_lshlrev_b16_e32 v17, 8, v27
	v_lshlrev_b16_e32 v16, 8, v16
	v_or_b32_e32 v17, v28, v17
	s_and_b64 s[4:5], vcc, s[10:11]
	v_or_b32_sdwa v16, v18, v16 dst_sel:WORD_1 dst_unused:UNUSED_PAD src0_sel:DWORD src1_sel:DWORD
	v_lshlrev_b16_e32 v18, 8, v30
	v_and_b32_e32 v17, 0xffff, v17
	v_cndmask_b32_e64 v29, 0, 1, s[4:5]
	v_or_b32_e32 v18, 1, v18
	v_lshl_or_b32 v17, v29, 16, v17
	v_or_b32_sdwa v16, v18, v16 dst_sel:DWORD dst_unused:UNUSED_PAD src0_sel:WORD_0 src1_sel:DWORD
	v_cmp_ne_u32_e32 vcc, 0, v0
	s_barrier
	s_waitcnt lgkmcnt(0)
                                        ; implicit-def: $sgpr4_sgpr5
                                        ; implicit-def: $vgpr18
	s_and_saveexec_b64 s[8:9], vcc
	s_cbranch_execz .LBB121_137
; %bb.36:
	v_add_u32_e32 v17, -8, v19
	ds_read_b64 v[30:31], v17
	s_mov_b32 s4, 0x3020104
	v_perm_b32 v18, v16, v16, s4
	v_cmp_gt_u32_e32 vcc, s3, v20
	s_or_b64 s[42:43], s[42:43], exec
	s_waitcnt lgkmcnt(0)
	v_cmp_neq_f32_e64 s[4:5], v30, v10
	v_cmp_neq_f32_e64 s[6:7], v31, v11
	s_or_b64 s[4:5], s[4:5], s[6:7]
	s_and_b64 s[4:5], vcc, s[4:5]
	s_and_b64 s[4:5], s[4:5], exec
                                        ; implicit-def: $vgpr16_vgpr17
	s_or_b64 exec, exec, s[8:9]
.LBB121_37:
	s_and_saveexec_b64 s[6:7], s[42:43]
	s_cbranch_execz .LBB121_39
.LBB121_38:
	s_waitcnt vmcnt(0) lgkmcnt(0)
	v_lshlrev_b16_e32 v17, 8, v27
	v_and_b32_e32 v19, 0xff, v29
	v_or_b32_sdwa v17, v28, v17 dst_sel:DWORD dst_unused:UNUSED_PAD src0_sel:BYTE_0 src1_sel:DWORD
	v_lshlrev_b32_e32 v19, 16, v19
	v_cndmask_b32_e64 v16, 0, 1, s[4:5]
	s_movk_i32 s4, 0xff
	v_or_b32_sdwa v17, v17, v19 dst_sel:DWORD dst_unused:UNUSED_PAD src0_sel:WORD_0 src1_sel:DWORD
	v_lshrrev_b32_e32 v19, 24, v18
	v_lshlrev_b16_e32 v19, 8, v19
	v_and_b32_sdwa v27, v18, s4 dst_sel:DWORD dst_unused:UNUSED_PAD src0_sel:WORD_1 src1_sel:DWORD
	v_or_b32_sdwa v19, v27, v19 dst_sel:WORD_1 dst_unused:UNUSED_PAD src0_sel:DWORD src1_sel:DWORD
	v_mov_b32_e32 v27, 8
	v_lshrrev_b32_sdwa v18, v27, v18 dst_sel:BYTE_1 dst_unused:UNUSED_PAD src0_sel:DWORD src1_sel:DWORD
	s_nop 0
	v_or_b32_e32 v16, v16, v18
	v_or_b32_sdwa v16, v16, v19 dst_sel:DWORD dst_unused:UNUSED_PAD src0_sel:WORD_0 src1_sel:DWORD
.LBB121_39:
	s_or_b64 exec, exec, s[6:7]
	s_load_dwordx2 s[20:21], s[0:1], 0x60
	s_andn2_b64 vcc, exec, s[38:39]
	s_cbranch_vccnz .LBB121_41
; %bb.40:
	s_waitcnt vmcnt(0) lgkmcnt(0)
	v_and_b32_e32 v18, 0xffff0000, v16
	v_cmp_gt_u32_e32 vcc, s3, v20
	s_mov_b32 s4, 0x40c0100
	s_nop 0
	v_cndmask_b32_e32 v18, v18, v16, vcc
	v_and_b32_e32 v18, 0xffff00ff, v18
	v_cmp_gt_u32_e32 vcc, s3, v22
	s_nop 1
	v_cndmask_b32_e32 v18, v18, v16, vcc
	v_lshrrev_b32_e32 v19, 24, v18
	v_perm_b32 v18, v19, v18, s4
	v_cmp_gt_u32_e32 vcc, s3, v21
	v_and_b32_e32 v19, 0xffffff00, v17
	s_nop 0
	v_cndmask_b32_e32 v18, v18, v16, vcc
	v_and_b32_e32 v18, 0xffffff, v18
	v_cmp_gt_u32_e32 vcc, s3, v25
	s_nop 1
	v_cndmask_b32_e32 v18, v18, v16, vcc
	v_cmp_gt_u32_e32 vcc, s3, v23
	s_nop 1
	v_cndmask_b32_e32 v19, v19, v17, vcc
	v_and_b32_e32 v19, 0xffff00ff, v19
	v_cndmask_b32_e32 v18, v18, v16, vcc
	v_cmp_gt_u32_e32 vcc, s3, v26
	s_nop 1
	v_cndmask_b32_e32 v19, v19, v17, vcc
	v_lshrrev_b32_e32 v20, 24, v19
	v_cndmask_b32_e32 v18, v18, v16, vcc
	v_perm_b32 v19, v20, v19, s4
	v_cmp_gt_u32_e32 vcc, s3, v24
	s_mov_b32 s3, 0x3020104
	s_nop 0
	v_cndmask_b32_e32 v16, v18, v16, vcc
	v_cndmask_b32_e32 v17, v19, v17, vcc
	v_mov_b32_e32 v18, 8
	v_lshrrev_b32_sdwa v18, v18, v17 dst_sel:BYTE_1 dst_unused:UNUSED_PAD src0_sel:DWORD src1_sel:DWORD
	v_perm_b32 v16, v16, v16, s3
	v_or_b32_sdwa v18, v17, v18 dst_sel:DWORD dst_unused:UNUSED_PAD src0_sel:BYTE_0 src1_sel:DWORD
	v_and_b32_e32 v18, 0xffff, v18
	v_bfe_u32 v17, v17, 16, 8
	v_lshl_or_b32 v17, v17, 16, v18
.LBB121_41:
	s_waitcnt vmcnt(0) lgkmcnt(0)
	v_and_b32_e32 v29, 0xff, v16
	v_bfe_u32 v31, v16, 8, 8
	v_bfe_u32 v33, v16, 16, 8
	v_alignbit_b32 v18, v17, v16, 24
	v_and_b32_e32 v35, 0xff, v18
	v_and_b32_e32 v37, 0xff, v17
	v_add3_u32 v19, v31, v29, v33
	v_bfe_u32 v38, v17, 8, 8
	v_bfe_u32 v18, v17, 16, 8
	v_add3_u32 v19, v19, v35, v37
	v_add3_u32 v41, v19, v38, v18
	v_mbcnt_lo_u32_b32 v18, -1, 0
	v_mbcnt_hi_u32_b32 v39, -1, v18
	v_and_b32_e32 v18, 15, v39
	v_cmp_eq_u32_e64 s[14:15], 0, v18
	v_cmp_lt_u32_e64 s[12:13], 1, v18
	v_cmp_lt_u32_e64 s[10:11], 3, v18
	;; [unrolled: 1-line block ×3, first 2 shown]
	v_and_b32_e32 v18, 16, v39
	v_cmp_eq_u32_e64 s[6:7], 0, v18
	v_or_b32_e32 v18, 63, v0
	v_cmp_lt_u32_e64 s[18:19], 31, v39
	v_lshrrev_b32_e32 v40, 6, v0
	v_cmp_eq_u32_e64 s[4:5], v18, v0
	s_and_b64 vcc, exec, s[40:41]
	s_barrier
	s_cbranch_vccz .LBB121_72
; %bb.42:
	v_mov_b32_dpp v18, v41 row_shr:1 row_mask:0xf bank_mask:0xf
	v_cndmask_b32_e64 v18, v18, 0, s[14:15]
	v_add_u32_e32 v18, v18, v41
	s_nop 1
	v_mov_b32_dpp v19, v18 row_shr:2 row_mask:0xf bank_mask:0xf
	v_cndmask_b32_e64 v19, 0, v19, s[12:13]
	v_add_u32_e32 v18, v18, v19
	s_nop 1
	;; [unrolled: 4-line block ×4, first 2 shown]
	v_mov_b32_dpp v19, v18 row_bcast:15 row_mask:0xf bank_mask:0xf
	v_cndmask_b32_e64 v19, v19, 0, s[6:7]
	v_add_u32_e32 v18, v18, v19
	s_nop 1
	v_mov_b32_dpp v19, v18 row_bcast:31 row_mask:0xf bank_mask:0xf
	v_cndmask_b32_e64 v19, 0, v19, s[18:19]
	v_add_u32_e32 v18, v18, v19
	s_and_saveexec_b64 s[16:17], s[4:5]
	s_cbranch_execz .LBB121_44
; %bb.43:
	v_lshlrev_b32_e32 v19, 2, v40
	ds_write_b32 v19, v18
.LBB121_44:
	s_or_b64 exec, exec, s[16:17]
	v_cmp_gt_u32_e32 vcc, 8, v0
	s_waitcnt lgkmcnt(0)
	s_barrier
	s_and_saveexec_b64 s[16:17], vcc
	s_cbranch_execz .LBB121_46
; %bb.45:
	v_lshlrev_b32_e32 v19, 2, v0
	ds_read_b32 v20, v19
	v_and_b32_e32 v21, 7, v39
	v_cmp_ne_u32_e32 vcc, 0, v21
	s_waitcnt lgkmcnt(0)
	v_mov_b32_dpp v22, v20 row_shr:1 row_mask:0xf bank_mask:0xf
	v_cndmask_b32_e32 v22, 0, v22, vcc
	v_add_u32_e32 v20, v22, v20
	v_cmp_lt_u32_e32 vcc, 1, v21
	s_nop 0
	v_mov_b32_dpp v22, v20 row_shr:2 row_mask:0xf bank_mask:0xf
	v_cndmask_b32_e32 v22, 0, v22, vcc
	v_add_u32_e32 v20, v20, v22
	v_cmp_lt_u32_e32 vcc, 3, v21
	s_nop 0
	v_mov_b32_dpp v22, v20 row_shr:4 row_mask:0xf bank_mask:0xf
	v_cndmask_b32_e32 v21, 0, v22, vcc
	v_add_u32_e32 v20, v20, v21
	ds_write_b32 v19, v20
.LBB121_46:
	s_or_b64 exec, exec, s[16:17]
	v_cmp_gt_u32_e32 vcc, 64, v0
	v_cmp_lt_u32_e64 s[16:17], 63, v0
	s_waitcnt lgkmcnt(0)
	s_barrier
	s_waitcnt lgkmcnt(0)
                                        ; implicit-def: $vgpr28
	s_and_saveexec_b64 s[22:23], s[16:17]
	s_cbranch_execz .LBB121_48
; %bb.47:
	v_lshl_add_u32 v19, v40, 2, -4
	ds_read_b32 v28, v19
	s_waitcnt lgkmcnt(0)
	v_add_u32_e32 v18, v28, v18
.LBB121_48:
	s_or_b64 exec, exec, s[22:23]
	v_add_u32_e32 v19, -1, v39
	v_and_b32_e32 v20, 64, v39
	v_cmp_lt_i32_e64 s[16:17], v19, v20
	s_nop 1
	v_cndmask_b32_e64 v19, v19, v39, s[16:17]
	v_lshlrev_b32_e32 v19, 2, v19
	ds_bpermute_b32 v30, v19, v18
	v_cmp_eq_u32_e64 s[16:17], 0, v39
	s_and_saveexec_b64 s[22:23], vcc
	s_cbranch_execz .LBB121_71
; %bb.49:
	v_mov_b32_e32 v27, 0
	ds_read_b32 v18, v27 offset:28
	s_and_saveexec_b64 s[24:25], s[16:17]
	s_cbranch_execz .LBB121_51
; %bb.50:
	s_add_i32 s26, s2, 64
	s_mov_b32 s27, 0
	s_lshl_b64 s[26:27], s[26:27], 3
	s_add_u32 s26, s20, s26
	v_mov_b32_e32 v19, 1
	s_addc_u32 s27, s21, s27
	s_waitcnt lgkmcnt(0)
	global_store_dwordx2 v27, v[18:19], s[26:27] sc1
.LBB121_51:
	s_or_b64 exec, exec, s[24:25]
	v_xad_u32 v20, v39, -1, s2
	v_add_u32_e32 v26, 64, v20
	v_lshl_add_u64 v[22:23], v[26:27], 3, s[20:21]
	global_load_dwordx2 v[24:25], v[22:23], off sc1
	s_waitcnt vmcnt(0)
	v_cmp_eq_u16_sdwa s[26:27], v25, v27 src0_sel:BYTE_0 src1_sel:DWORD
	s_and_saveexec_b64 s[24:25], s[26:27]
	s_cbranch_execz .LBB121_57
; %bb.52:
	s_mov_b32 s3, 1
	s_mov_b64 s[26:27], 0
	v_mov_b32_e32 v19, 0
.LBB121_53:                             ; =>This Loop Header: Depth=1
                                        ;     Child Loop BB121_54 Depth 2
	s_max_u32 s33, s3, 1
.LBB121_54:                             ;   Parent Loop BB121_53 Depth=1
                                        ; =>  This Inner Loop Header: Depth=2
	s_add_i32 s33, s33, -1
	s_cmp_eq_u32 s33, 0
	s_sleep 1
	s_cbranch_scc0 .LBB121_54
; %bb.55:                               ;   in Loop: Header=BB121_53 Depth=1
	global_load_dwordx2 v[24:25], v[22:23], off sc1
	s_cmp_lt_u32 s3, 32
	s_cselect_b64 s[38:39], -1, 0
	s_cmp_lg_u64 s[38:39], 0
	s_addc_u32 s3, s3, 0
	s_waitcnt vmcnt(0)
	v_cmp_ne_u16_sdwa s[38:39], v25, v19 src0_sel:BYTE_0 src1_sel:DWORD
	s_or_b64 s[26:27], s[38:39], s[26:27]
	s_andn2_b64 exec, exec, s[26:27]
	s_cbranch_execnz .LBB121_53
; %bb.56:
	s_or_b64 exec, exec, s[26:27]
.LBB121_57:
	s_or_b64 exec, exec, s[24:25]
	v_and_b32_e32 v34, 63, v39
	v_mov_b32_e32 v32, 2
	v_cmp_ne_u32_e32 vcc, 63, v34
	v_cmp_eq_u16_sdwa s[24:25], v25, v32 src0_sel:BYTE_0 src1_sel:DWORD
	v_lshlrev_b64 v[22:23], v39, -1
	v_addc_co_u32_e32 v26, vcc, 0, v39, vcc
	v_and_b32_e32 v19, s25, v23
	v_lshlrev_b32_e32 v36, 2, v26
	v_or_b32_e32 v19, 0x80000000, v19
	ds_bpermute_b32 v26, v36, v24
	v_and_b32_e32 v21, s24, v22
	v_ffbl_b32_e32 v19, v19
	v_add_u32_e32 v19, 32, v19
	v_ffbl_b32_e32 v21, v21
	v_min_u32_e32 v19, v21, v19
	v_cmp_lt_u32_e32 vcc, v34, v19
	v_add_u32_e32 v43, 2, v34
	v_add_u32_e32 v45, 4, v34
	s_waitcnt lgkmcnt(0)
	v_cndmask_b32_e32 v21, 0, v26, vcc
	v_cmp_gt_u32_e32 vcc, 62, v34
	v_add_u32_e32 v21, v21, v24
	v_add_u32_e32 v47, 8, v34
	v_cndmask_b32_e64 v24, 0, 1, vcc
	v_lshlrev_b32_e32 v24, 1, v24
	v_add_lshl_u32 v42, v24, v39, 2
	ds_bpermute_b32 v24, v42, v21
	v_cmp_le_u32_e32 vcc, v43, v19
	v_add_u32_e32 v49, 16, v34
	v_add_u32_e32 v51, 32, v34
	s_waitcnt lgkmcnt(0)
	v_cndmask_b32_e32 v24, 0, v24, vcc
	v_cmp_gt_u32_e32 vcc, 60, v34
	v_add_u32_e32 v21, v21, v24
	s_nop 0
	v_cndmask_b32_e64 v24, 0, 1, vcc
	v_lshlrev_b32_e32 v24, 2, v24
	v_add_lshl_u32 v44, v24, v39, 2
	ds_bpermute_b32 v24, v44, v21
	v_cmp_le_u32_e32 vcc, v45, v19
	s_waitcnt lgkmcnt(0)
	s_nop 0
	v_cndmask_b32_e32 v24, 0, v24, vcc
	v_cmp_gt_u32_e32 vcc, 56, v34
	v_add_u32_e32 v21, v21, v24
	s_nop 0
	v_cndmask_b32_e64 v24, 0, 1, vcc
	v_lshlrev_b32_e32 v24, 3, v24
	v_add_lshl_u32 v46, v24, v39, 2
	ds_bpermute_b32 v24, v46, v21
	v_cmp_le_u32_e32 vcc, v47, v19
	s_waitcnt lgkmcnt(0)
	s_nop 0
	;; [unrolled: 11-line block ×4, first 2 shown]
	v_cndmask_b32_e32 v19, 0, v24, vcc
	v_add_u32_e32 v24, v21, v19
	v_mov_b32_e32 v21, 0
	s_branch .LBB121_59
.LBB121_58:                             ;   in Loop: Header=BB121_59 Depth=1
	s_or_b64 exec, exec, s[24:25]
	v_cmp_eq_u16_sdwa s[24:25], v25, v32 src0_sel:BYTE_0 src1_sel:DWORD
	ds_bpermute_b32 v52, v36, v24
	v_subrev_u32_e32 v20, 64, v20
	v_and_b32_e32 v26, s25, v23
	v_or_b32_e32 v26, 0x80000000, v26
	v_and_b32_e32 v27, s24, v22
	v_ffbl_b32_e32 v26, v26
	v_add_u32_e32 v26, 32, v26
	v_ffbl_b32_e32 v27, v27
	v_min_u32_e32 v26, v27, v26
	v_cmp_lt_u32_e32 vcc, v34, v26
	s_waitcnt lgkmcnt(0)
	s_nop 0
	v_cndmask_b32_e32 v27, 0, v52, vcc
	v_add_u32_e32 v24, v27, v24
	ds_bpermute_b32 v27, v42, v24
	v_cmp_le_u32_e32 vcc, v43, v26
	s_waitcnt lgkmcnt(0)
	s_nop 0
	v_cndmask_b32_e32 v27, 0, v27, vcc
	v_add_u32_e32 v24, v24, v27
	ds_bpermute_b32 v27, v44, v24
	v_cmp_le_u32_e32 vcc, v45, v26
	;; [unrolled: 6-line block ×5, first 2 shown]
	s_waitcnt lgkmcnt(0)
	s_nop 0
	v_cndmask_b32_e32 v26, 0, v27, vcc
	v_add3_u32 v24, v26, v19, v24
.LBB121_59:                             ; =>This Loop Header: Depth=1
                                        ;     Child Loop BB121_62 Depth 2
                                        ;       Child Loop BB121_63 Depth 3
	v_cmp_ne_u16_sdwa s[24:25], v25, v32 src0_sel:BYTE_0 src1_sel:DWORD
	s_nop 1
	v_cndmask_b32_e64 v19, 0, 1, s[24:25]
	;;#ASMSTART
	;;#ASMEND
	s_nop 0
	v_cmp_ne_u32_e32 vcc, 0, v19
	s_cmp_lg_u64 vcc, exec
	v_mov_b32_e32 v19, v24
	s_cbranch_scc1 .LBB121_66
; %bb.60:                               ;   in Loop: Header=BB121_59 Depth=1
	v_lshl_add_u64 v[26:27], v[20:21], 3, s[20:21]
	global_load_dwordx2 v[24:25], v[26:27], off sc1
	s_waitcnt vmcnt(0)
	v_cmp_eq_u16_sdwa s[26:27], v25, v21 src0_sel:BYTE_0 src1_sel:DWORD
	s_and_saveexec_b64 s[24:25], s[26:27]
	s_cbranch_execz .LBB121_58
; %bb.61:                               ;   in Loop: Header=BB121_59 Depth=1
	s_mov_b32 s3, 1
	s_mov_b64 s[26:27], 0
.LBB121_62:                             ;   Parent Loop BB121_59 Depth=1
                                        ; =>  This Loop Header: Depth=2
                                        ;       Child Loop BB121_63 Depth 3
	s_max_u32 s33, s3, 1
.LBB121_63:                             ;   Parent Loop BB121_59 Depth=1
                                        ;     Parent Loop BB121_62 Depth=2
                                        ; =>    This Inner Loop Header: Depth=3
	s_add_i32 s33, s33, -1
	s_cmp_eq_u32 s33, 0
	s_sleep 1
	s_cbranch_scc0 .LBB121_63
; %bb.64:                               ;   in Loop: Header=BB121_62 Depth=2
	global_load_dwordx2 v[24:25], v[26:27], off sc1
	s_cmp_lt_u32 s3, 32
	s_cselect_b64 s[38:39], -1, 0
	s_cmp_lg_u64 s[38:39], 0
	s_addc_u32 s3, s3, 0
	s_waitcnt vmcnt(0)
	v_cmp_ne_u16_sdwa s[38:39], v25, v21 src0_sel:BYTE_0 src1_sel:DWORD
	s_or_b64 s[26:27], s[38:39], s[26:27]
	s_andn2_b64 exec, exec, s[26:27]
	s_cbranch_execnz .LBB121_62
; %bb.65:                               ;   in Loop: Header=BB121_59 Depth=1
	s_or_b64 exec, exec, s[26:27]
	s_branch .LBB121_58
.LBB121_66:                             ;   in Loop: Header=BB121_59 Depth=1
                                        ; implicit-def: $vgpr24
                                        ; implicit-def: $vgpr25
	s_cbranch_execz .LBB121_59
; %bb.67:
	s_and_saveexec_b64 s[24:25], s[16:17]
	s_cbranch_execz .LBB121_69
; %bb.68:
	s_add_i32 s2, s2, 64
	s_mov_b32 s3, 0
	s_lshl_b64 s[2:3], s[2:3], 3
	s_add_u32 s2, s20, s2
	v_add_u32_e32 v20, v19, v18
	v_mov_b32_e32 v21, 2
	s_addc_u32 s3, s21, s3
	v_mov_b32_e32 v22, 0
	global_store_dwordx2 v22, v[20:21], s[2:3] sc1
	ds_write_b64 v22, v[18:19] offset:28672
.LBB121_69:
	s_or_b64 exec, exec, s[24:25]
	v_cmp_eq_u32_e32 vcc, 0, v0
	s_and_b64 exec, exec, vcc
	s_cbranch_execz .LBB121_71
; %bb.70:
	v_mov_b32_e32 v18, 0
	ds_write_b32 v18, v19 offset:28
.LBB121_71:
	s_or_b64 exec, exec, s[22:23]
	v_mov_b32_e32 v18, 0
	s_waitcnt lgkmcnt(0)
	s_barrier
	ds_read_b32 v19, v18 offset:28
	v_cndmask_b32_e64 v20, v30, v28, s[16:17]
	v_cmp_ne_u32_e32 vcc, 0, v0
	s_waitcnt lgkmcnt(0)
	s_barrier
	v_cndmask_b32_e32 v20, 0, v20, vcc
	v_add_u32_e32 v36, v19, v20
	v_add_u32_e32 v34, v36, v29
	ds_read_b64 v[18:19], v18 offset:28672
	v_add_u32_e32 v32, v34, v31
	v_add_u32_e32 v30, v32, v33
	;; [unrolled: 1-line block ×5, first 2 shown]
	s_waitcnt lgkmcnt(0)
	v_mov_b32_e32 v20, v19
	s_load_dwordx2 s[2:3], s[0:1], 0x28
	v_lshrrev_b64 v[22:23], 24, v[16:17]
	s_branch .LBB121_82
.LBB121_72:
                                        ; implicit-def: $vgpr20
                                        ; implicit-def: $vgpr18
                                        ; implicit-def: $vgpr24
                                        ; implicit-def: $vgpr26
                                        ; implicit-def: $vgpr28
                                        ; implicit-def: $vgpr30
                                        ; implicit-def: $vgpr32
                                        ; implicit-def: $vgpr34
                                        ; implicit-def: $vgpr36
	s_load_dwordx2 s[2:3], s[0:1], 0x28
	v_lshrrev_b64 v[22:23], 24, v[16:17]
	s_cbranch_execz .LBB121_82
; %bb.73:
	v_mov_b32_dpp v18, v41 row_shr:1 row_mask:0xf bank_mask:0xf
	v_cndmask_b32_e64 v18, v18, 0, s[14:15]
	v_add_u32_e32 v18, v18, v41
	s_nop 1
	v_mov_b32_dpp v19, v18 row_shr:2 row_mask:0xf bank_mask:0xf
	v_cndmask_b32_e64 v19, 0, v19, s[12:13]
	v_add_u32_e32 v18, v18, v19
	s_nop 1
	;; [unrolled: 4-line block ×4, first 2 shown]
	v_mov_b32_dpp v19, v18 row_bcast:15 row_mask:0xf bank_mask:0xf
	v_cndmask_b32_e64 v19, v19, 0, s[6:7]
	v_add_u32_e32 v18, v18, v19
	s_nop 1
	v_mov_b32_dpp v19, v18 row_bcast:31 row_mask:0xf bank_mask:0xf
	v_cndmask_b32_e64 v19, 0, v19, s[18:19]
	v_add_u32_e32 v18, v18, v19
	s_and_saveexec_b64 s[0:1], s[4:5]
	s_cbranch_execz .LBB121_75
; %bb.74:
	v_lshlrev_b32_e32 v19, 2, v40
	ds_write_b32 v19, v18
.LBB121_75:
	s_or_b64 exec, exec, s[0:1]
	v_cmp_gt_u32_e32 vcc, 8, v0
	s_waitcnt lgkmcnt(0)
	s_barrier
	s_and_saveexec_b64 s[0:1], vcc
	s_cbranch_execz .LBB121_77
; %bb.76:
	s_movk_i32 s4, 0xffcc
	v_mad_i32_i24 v1, v0, s4, v1
	ds_read_b32 v19, v1
	v_and_b32_e32 v20, 7, v39
	v_cmp_ne_u32_e32 vcc, 0, v20
	s_waitcnt lgkmcnt(0)
	v_mov_b32_dpp v21, v19 row_shr:1 row_mask:0xf bank_mask:0xf
	v_cndmask_b32_e32 v21, 0, v21, vcc
	v_add_u32_e32 v19, v21, v19
	v_cmp_lt_u32_e32 vcc, 1, v20
	s_nop 0
	v_mov_b32_dpp v21, v19 row_shr:2 row_mask:0xf bank_mask:0xf
	v_cndmask_b32_e32 v21, 0, v21, vcc
	v_add_u32_e32 v19, v19, v21
	v_cmp_lt_u32_e32 vcc, 3, v20
	s_nop 0
	v_mov_b32_dpp v21, v19 row_shr:4 row_mask:0xf bank_mask:0xf
	v_cndmask_b32_e32 v20, 0, v21, vcc
	v_add_u32_e32 v19, v19, v20
	ds_write_b32 v1, v19
.LBB121_77:
	s_or_b64 exec, exec, s[0:1]
	v_cmp_lt_u32_e32 vcc, 63, v0
	v_mov_b32_e32 v19, 0
	v_mov_b32_e32 v1, 0
	s_waitcnt lgkmcnt(0)
	s_barrier
	s_and_saveexec_b64 s[0:1], vcc
	s_cbranch_execz .LBB121_79
; %bb.78:
	v_lshl_add_u32 v1, v40, 2, -4
	ds_read_b32 v1, v1
.LBB121_79:
	s_or_b64 exec, exec, s[0:1]
	v_add_u32_e32 v20, -1, v39
	v_and_b32_e32 v21, 64, v39
	v_cmp_lt_i32_e32 vcc, v20, v21
	s_waitcnt lgkmcnt(0)
	v_add_u32_e32 v18, v1, v18
	v_cndmask_b32_e32 v20, v20, v39, vcc
	v_lshlrev_b32_e32 v20, 2, v20
	ds_bpermute_b32 v20, v20, v18
	ds_read_b32 v18, v19 offset:28
	v_cmp_eq_u32_e32 vcc, 0, v0
	s_and_saveexec_b64 s[0:1], vcc
	s_cbranch_execz .LBB121_81
; %bb.80:
	v_mov_b32_e32 v21, 0
	v_mov_b32_e32 v19, 2
	s_waitcnt lgkmcnt(0)
	global_store_dwordx2 v21, v[18:19], s[20:21] offset:512 sc1
.LBB121_81:
	s_or_b64 exec, exec, s[0:1]
	v_cmp_eq_u32_e64 s[0:1], 0, v39
	s_waitcnt lgkmcnt(0)
	s_barrier
	v_cndmask_b32_e64 v1, v20, v1, s[0:1]
	v_cndmask_b32_e64 v36, v1, 0, vcc
	v_add_u32_e32 v34, v36, v29
	v_add_u32_e32 v32, v34, v31
	;; [unrolled: 1-line block ×5, first 2 shown]
	v_mov_b32_e32 v20, 0
	v_add_u32_e32 v24, v26, v38
.LBB121_82:
	s_movk_i32 s0, 0x201
	v_cmp_gt_u32_e32 vcc, s0, v18
	v_lshrrev_b32_e32 v19, 8, v16
	v_lshrrev_b32_e32 v1, 8, v17
	s_mov_b64 s[0:1], -1
	s_cbranch_vccnz .LBB121_86
; %bb.83:
	s_and_b64 vcc, exec, s[0:1]
	s_cbranch_vccnz .LBB121_108
.LBB121_84:
	v_cmp_eq_u32_e32 vcc, 0, v0
	s_and_b64 s[0:1], vcc, s[34:35]
	s_waitcnt lgkmcnt(0)
	s_and_saveexec_b64 s[2:3], s[0:1]
	s_cbranch_execnz .LBB121_136
.LBB121_85:
	s_endpgm
.LBB121_86:
	v_add_u32_e32 v21, v20, v18
	s_lshl_b64 s[0:1], s[30:31], 3
	s_waitcnt lgkmcnt(0)
	s_add_u32 s0, s2, s0
	v_cmp_lt_u32_e32 vcc, v36, v21
	s_addc_u32 s1, s3, s1
	s_or_b64 s[6:7], s[36:37], vcc
	s_and_saveexec_b64 s[4:5], s[6:7]
	s_cbranch_execz .LBB121_89
; %bb.87:
	v_and_b32_e32 v23, 1, v16
	v_cmp_eq_u32_e32 vcc, 1, v23
	s_and_b64 exec, exec, vcc
	s_cbranch_execz .LBB121_89
; %bb.88:
	v_mov_b32_e32 v37, 0
	v_lshl_add_u64 v[38:39], v[36:37], 3, s[0:1]
	global_store_dwordx2 v[38:39], v[10:11], off
.LBB121_89:
	s_or_b64 exec, exec, s[4:5]
	v_cmp_lt_u32_e32 vcc, v34, v21
	s_or_b64 s[6:7], s[36:37], vcc
	s_and_saveexec_b64 s[4:5], s[6:7]
	s_cbranch_execz .LBB121_92
; %bb.90:
	v_and_b32_e32 v23, 1, v19
	v_cmp_eq_u32_e32 vcc, 1, v23
	s_and_b64 exec, exec, vcc
	s_cbranch_execz .LBB121_92
; %bb.91:
	v_mov_b32_e32 v35, 0
	v_lshl_add_u64 v[38:39], v[34:35], 3, s[0:1]
	global_store_dwordx2 v[38:39], v[12:13], off
.LBB121_92:
	s_or_b64 exec, exec, s[4:5]
	v_cmp_lt_u32_e32 vcc, v32, v21
	s_or_b64 s[6:7], s[36:37], vcc
	s_and_saveexec_b64 s[4:5], s[6:7]
	s_cbranch_execz .LBB121_95
; %bb.93:
	v_mov_b32_e32 v23, 1
	v_and_b32_sdwa v23, v23, v16 dst_sel:DWORD dst_unused:UNUSED_PAD src0_sel:DWORD src1_sel:WORD_1
	v_cmp_eq_u32_e32 vcc, 1, v23
	s_and_b64 exec, exec, vcc
	s_cbranch_execz .LBB121_95
; %bb.94:
	v_mov_b32_e32 v33, 0
	v_lshl_add_u64 v[38:39], v[32:33], 3, s[0:1]
	global_store_dwordx2 v[38:39], v[6:7], off
.LBB121_95:
	s_or_b64 exec, exec, s[4:5]
	v_cmp_lt_u32_e32 vcc, v30, v21
	s_or_b64 s[6:7], s[36:37], vcc
	s_and_saveexec_b64 s[4:5], s[6:7]
	s_cbranch_execz .LBB121_98
; %bb.96:
	v_and_b32_e32 v23, 1, v22
	v_cmp_eq_u32_e32 vcc, 1, v23
	s_and_b64 exec, exec, vcc
	s_cbranch_execz .LBB121_98
; %bb.97:
	v_mov_b32_e32 v31, 0
	v_lshl_add_u64 v[38:39], v[30:31], 3, s[0:1]
	global_store_dwordx2 v[38:39], v[8:9], off
.LBB121_98:
	s_or_b64 exec, exec, s[4:5]
	v_cmp_lt_u32_e32 vcc, v28, v21
	s_or_b64 s[6:7], s[36:37], vcc
	s_and_saveexec_b64 s[4:5], s[6:7]
	s_cbranch_execz .LBB121_101
; %bb.99:
	v_and_b32_e32 v23, 1, v17
	v_cmp_eq_u32_e32 vcc, 1, v23
	s_and_b64 exec, exec, vcc
	s_cbranch_execz .LBB121_101
; %bb.100:
	v_mov_b32_e32 v29, 0
	v_lshl_add_u64 v[38:39], v[28:29], 3, s[0:1]
	global_store_dwordx2 v[38:39], v[2:3], off
.LBB121_101:
	;; [unrolled: 15-line block ×3, first 2 shown]
	s_or_b64 exec, exec, s[4:5]
	v_cmp_lt_u32_e32 vcc, v24, v21
	s_or_b64 s[6:7], s[36:37], vcc
	s_and_saveexec_b64 s[4:5], s[6:7]
	s_cbranch_execz .LBB121_107
; %bb.105:
	v_mov_b32_e32 v21, 1
	v_and_b32_sdwa v21, v21, v17 dst_sel:DWORD dst_unused:UNUSED_PAD src0_sel:DWORD src1_sel:WORD_1
	v_cmp_eq_u32_e32 vcc, 1, v21
	s_and_b64 exec, exec, vcc
	s_cbranch_execz .LBB121_107
; %bb.106:
	v_mov_b32_e32 v25, 0
	v_lshl_add_u64 v[38:39], v[24:25], 3, s[0:1]
	global_store_dwordx2 v[38:39], v[14:15], off
.LBB121_107:
	s_or_b64 exec, exec, s[4:5]
	s_branch .LBB121_84
.LBB121_108:
	v_and_b32_e32 v21, 1, v16
	v_cmp_eq_u32_e32 vcc, 1, v21
	s_and_saveexec_b64 s[0:1], vcc
	s_cbranch_execz .LBB121_110
; %bb.109:
	v_sub_u32_e32 v21, v36, v20
	v_lshlrev_b32_e32 v21, 3, v21
	ds_write_b64 v21, v[10:11]
.LBB121_110:
	s_or_b64 exec, exec, s[0:1]
	v_and_b32_e32 v10, 1, v19
	v_cmp_eq_u32_e32 vcc, 1, v10
	s_and_saveexec_b64 s[0:1], vcc
	s_cbranch_execz .LBB121_112
; %bb.111:
	v_sub_u32_e32 v10, v34, v20
	v_lshlrev_b32_e32 v10, 3, v10
	ds_write_b64 v10, v[12:13]
.LBB121_112:
	s_or_b64 exec, exec, s[0:1]
	v_mov_b32_e32 v10, 1
	v_and_b32_sdwa v10, v10, v16 dst_sel:DWORD dst_unused:UNUSED_PAD src0_sel:DWORD src1_sel:WORD_1
	v_cmp_eq_u32_e32 vcc, 1, v10
	s_and_saveexec_b64 s[0:1], vcc
	s_cbranch_execz .LBB121_114
; %bb.113:
	v_sub_u32_e32 v10, v32, v20
	v_lshlrev_b32_e32 v10, 3, v10
	ds_write_b64 v10, v[6:7]
.LBB121_114:
	s_or_b64 exec, exec, s[0:1]
	v_and_b32_e32 v6, 1, v22
	v_cmp_eq_u32_e32 vcc, 1, v6
	s_and_saveexec_b64 s[0:1], vcc
	s_cbranch_execz .LBB121_116
; %bb.115:
	v_sub_u32_e32 v6, v30, v20
	v_lshlrev_b32_e32 v6, 3, v6
	ds_write_b64 v6, v[8:9]
.LBB121_116:
	s_or_b64 exec, exec, s[0:1]
	v_and_b32_e32 v6, 1, v17
	;; [unrolled: 10-line block ×3, first 2 shown]
	v_cmp_eq_u32_e32 vcc, 1, v1
	s_and_saveexec_b64 s[0:1], vcc
	s_cbranch_execz .LBB121_120
; %bb.119:
	v_sub_u32_e32 v1, v26, v20
	v_lshlrev_b32_e32 v1, 3, v1
	ds_write_b64 v1, v[4:5]
.LBB121_120:
	s_or_b64 exec, exec, s[0:1]
	v_mov_b32_e32 v1, 1
	v_and_b32_sdwa v1, v1, v17 dst_sel:DWORD dst_unused:UNUSED_PAD src0_sel:DWORD src1_sel:WORD_1
	v_cmp_eq_u32_e32 vcc, 1, v1
	s_and_saveexec_b64 s[0:1], vcc
	s_cbranch_execz .LBB121_122
; %bb.121:
	v_sub_u32_e32 v1, v24, v20
	v_lshlrev_b32_e32 v1, 3, v1
	ds_write_b64 v1, v[14:15]
.LBB121_122:
	s_or_b64 exec, exec, s[0:1]
	v_cmp_lt_u32_e32 vcc, v0, v18
	s_waitcnt lgkmcnt(0)
	s_barrier
	s_and_saveexec_b64 s[0:1], vcc
	s_cbranch_execz .LBB121_135
; %bb.123:
	s_lshl_b64 s[4:5], s[30:31], 3
	v_mov_b32_e32 v21, 0
	s_add_u32 s2, s2, s4
	s_addc_u32 s3, s3, s5
	v_lshlrev_b64 v[2:3], 3, v[20:21]
	v_lshl_add_u64 v[2:3], s[2:3], 0, v[2:3]
	v_xad_u32 v1, v0, -1, v18
	s_movk_i32 s2, 0x1ff
	v_cmp_lt_u32_e32 vcc, s2, v1
	s_mov_b64 s[4:5], -1
	v_mov_b32_e32 v4, v0
	s_and_saveexec_b64 s[2:3], vcc
	s_cbranch_execz .LBB121_132
; %bb.124:
	v_lshrrev_b32_e32 v8, 9, v1
	v_add_u32_e32 v4, -1, v8
	v_or_b32_e32 v1, 0x200, v0
	v_lshrrev_b32_e32 v5, 1, v4
	v_add_u32_e32 v10, 1, v5
	v_cmp_lt_u32_e32 vcc, 13, v4
	v_lshlrev_b32_e32 v9, 3, v0
	v_mov_b64_e32 v[4:5], v[0:1]
	s_and_saveexec_b64 s[4:5], vcc
	s_cbranch_execz .LBB121_128
; %bb.125:
	v_and_b32_e32 v11, -8, v10
	s_mov_b32 s8, 0
	s_mov_b64 s[6:7], 0
	v_mov_b32_e32 v7, 0
	v_mov_b32_e32 v12, v9
	v_mov_b64_e32 v[4:5], v[0:1]
.LBB121_126:                            ; =>This Inner Loop Header: Depth=1
	v_mov_b32_e32 v6, v4
	ds_read2st64_b64 v[14:17], v12 offset1:8
	ds_read2st64_b64 v[30:33], v12 offset0:48 offset1:56
	v_lshl_add_u64 v[64:65], v[6:7], 3, v[2:3]
	v_mov_b32_e32 v6, v5
	ds_read2st64_b64 v[22:25], v12 offset0:16 offset1:24
	ds_read2st64_b64 v[34:37], v12 offset0:64 offset1:72
	v_lshl_add_u64 v[66:67], v[6:7], 3, v[2:3]
	v_add_u32_e32 v6, 0x400, v4
	ds_read2st64_b64 v[38:41], v12 offset0:80 offset1:88
	v_lshl_add_u64 v[68:69], v[6:7], 3, v[2:3]
	v_add_u32_e32 v6, 0x800, v4
	v_add_u32_e32 v50, 0x400, v5
	v_mov_b32_e32 v51, v7
	v_add_u32_e32 v52, 0x800, v5
	v_mov_b32_e32 v53, v7
	ds_read2st64_b64 v[26:29], v12 offset0:32 offset1:40
	ds_read2st64_b64 v[42:45], v12 offset0:96 offset1:104
	v_lshl_add_u64 v[70:71], v[6:7], 3, v[2:3]
	v_add_u32_e32 v6, 0xc00, v4
	v_add_u32_e32 v54, 0xc00, v5
	v_mov_b32_e32 v55, v7
	ds_read2st64_b64 v[46:49], v12 offset0:112 offset1:120
	v_lshl_add_u64 v[50:51], v[50:51], 3, v[2:3]
	v_lshl_add_u64 v[52:53], v[52:53], 3, v[2:3]
	s_waitcnt lgkmcnt(7)
	global_store_dwordx2 v[64:65], v[14:15], off
	global_store_dwordx2 v[66:67], v[16:17], off
	s_waitcnt lgkmcnt(5)
	global_store_dwordx2 v[68:69], v[22:23], off
	global_store_dwordx2 v[50:51], v[24:25], off
	;; [unrolled: 3-line block ×3, first 2 shown]
	v_lshl_add_u64 v[14:15], v[6:7], 3, v[2:3]
	v_add_u32_e32 v6, 0x1000, v4
	v_add_u32_e32 v56, 0x1000, v5
	v_mov_b32_e32 v57, v7
	v_lshl_add_u64 v[54:55], v[54:55], 3, v[2:3]
	global_store_dwordx2 v[14:15], v[30:31], off
	global_store_dwordx2 v[54:55], v[32:33], off
	v_lshl_add_u64 v[14:15], v[6:7], 3, v[2:3]
	v_add_u32_e32 v6, 0x1400, v4
	v_add_u32_e32 v58, 0x1400, v5
	v_mov_b32_e32 v59, v7
	v_add_u32_e32 v11, -8, v11
	v_lshl_add_u64 v[56:57], v[56:57], 3, v[2:3]
	global_store_dwordx2 v[14:15], v[34:35], off
	global_store_dwordx2 v[56:57], v[36:37], off
	v_lshl_add_u64 v[14:15], v[6:7], 3, v[2:3]
	v_add_u32_e32 v6, 0x1800, v4
	v_add_u32_e32 v60, 0x1800, v5
	v_mov_b32_e32 v61, v7
	s_add_i32 s8, s8, 16
	v_lshl_add_u64 v[58:59], v[58:59], 3, v[2:3]
	v_cmp_eq_u32_e32 vcc, 0, v11
	global_store_dwordx2 v[14:15], v[38:39], off
	global_store_dwordx2 v[58:59], v[40:41], off
	v_lshl_add_u64 v[14:15], v[6:7], 3, v[2:3]
	v_add_u32_e32 v6, 0x1c00, v4
	v_add_u32_e32 v62, 0x1c00, v5
	v_mov_b32_e32 v63, v7
	v_add_u32_e32 v12, 0x10000, v12
	v_lshl_add_u64 v[60:61], v[60:61], 3, v[2:3]
	v_add_u32_e32 v5, 0x2000, v5
	v_mov_b32_e32 v21, s8
	s_or_b64 s[6:7], vcc, s[6:7]
	v_add_u32_e32 v4, 0x2000, v4
	s_waitcnt lgkmcnt(1)
	global_store_dwordx2 v[14:15], v[42:43], off
	global_store_dwordx2 v[60:61], v[44:45], off
	v_lshl_add_u64 v[14:15], v[6:7], 3, v[2:3]
	v_lshl_add_u64 v[62:63], v[62:63], 3, v[2:3]
	s_waitcnt lgkmcnt(0)
	global_store_dwordx2 v[14:15], v[46:47], off
	global_store_dwordx2 v[62:63], v[48:49], off
	s_andn2_b64 exec, exec, s[6:7]
	s_cbranch_execnz .LBB121_126
; %bb.127:
	s_or_b64 exec, exec, s[6:7]
.LBB121_128:
	s_or_b64 exec, exec, s[4:5]
	v_and_b32_e32 v1, 7, v10
	v_cmp_ne_u32_e32 vcc, 0, v1
	s_and_saveexec_b64 s[4:5], vcc
	s_cbranch_execz .LBB121_131
; %bb.129:
	v_lshl_or_b32 v9, v21, 12, v9
	s_mov_b64 s[6:7], 0
	v_mov_b32_e32 v7, 0
.LBB121_130:                            ; =>This Inner Loop Header: Depth=1
	ds_read2st64_b64 v[10:13], v9 offset1:8
	v_add_u32_e32 v1, -1, v1
	v_mov_b32_e32 v6, v4
	v_cmp_eq_u32_e32 vcc, 0, v1
	v_add_u32_e32 v4, 0x400, v4
	v_add_u32_e32 v9, 0x2000, v9
	v_lshl_add_u64 v[14:15], v[6:7], 3, v[2:3]
	v_mov_b32_e32 v6, v5
	v_add_u32_e32 v5, 0x400, v5
	s_or_b64 s[6:7], vcc, s[6:7]
	v_lshl_add_u64 v[16:17], v[6:7], 3, v[2:3]
	s_waitcnt lgkmcnt(0)
	global_store_dwordx2 v[14:15], v[10:11], off
	global_store_dwordx2 v[16:17], v[12:13], off
	s_andn2_b64 exec, exec, s[6:7]
	s_cbranch_execnz .LBB121_130
.LBB121_131:
	s_or_b64 exec, exec, s[4:5]
	v_add_u32_e32 v1, 1, v8
	v_and_b32_e32 v5, 0xfffffe, v1
	v_cmp_ne_u32_e32 vcc, v1, v5
	v_lshl_or_b32 v4, v5, 9, v0
	s_orn2_b64 s[4:5], vcc, exec
.LBB121_132:
	s_or_b64 exec, exec, s[2:3]
	s_and_b64 exec, exec, s[4:5]
	s_cbranch_execz .LBB121_135
; %bb.133:
	v_lshlrev_b32_e32 v1, 3, v4
	s_mov_b64 s[2:3], 0
	v_mov_b32_e32 v5, 0
.LBB121_134:                            ; =>This Inner Loop Header: Depth=1
	ds_read_b64 v[8:9], v1
	v_lshl_add_u64 v[6:7], v[4:5], 3, v[2:3]
	v_add_u32_e32 v4, 0x200, v4
	v_cmp_ge_u32_e32 vcc, v4, v18
	v_add_u32_e32 v1, 0x1000, v1
	s_or_b64 s[2:3], vcc, s[2:3]
	s_waitcnt lgkmcnt(0)
	global_store_dwordx2 v[6:7], v[8:9], off
	s_andn2_b64 exec, exec, s[2:3]
	s_cbranch_execnz .LBB121_134
.LBB121_135:
	s_or_b64 exec, exec, s[0:1]
	v_cmp_eq_u32_e32 vcc, 0, v0
	s_and_b64 s[0:1], vcc, s[34:35]
	s_and_saveexec_b64 s[2:3], s[0:1]
	s_cbranch_execz .LBB121_85
.LBB121_136:
	v_mov_b32_e32 v19, 0
	v_lshl_add_u64 v[0:1], s[30:31], 0, v[18:19]
	v_mov_b32_e32 v21, v19
	v_lshl_add_u64 v[0:1], v[0:1], 0, v[20:21]
	global_store_dwordx2 v19, v[0:1], s[28:29]
	s_endpgm
.LBB121_137:
	s_or_b64 exec, exec, s[8:9]
	s_and_saveexec_b64 s[6:7], s[42:43]
	s_cbranch_execnz .LBB121_38
	s_branch .LBB121_39
	.section	.rodata,"a",@progbits
	.p2align	6, 0x0
	.amdhsa_kernel _ZN7rocprim17ROCPRIM_400000_NS6detail17trampoline_kernelINS0_14default_configENS1_25partition_config_selectorILNS1_17partition_subalgoE8EN6thrust23THRUST_200600_302600_NS5tupleIffNS7_9null_typeES9_S9_S9_S9_S9_S9_S9_EENS0_10empty_typeEbEEZZNS1_14partition_implILS5_8ELb0ES3_jNS7_6detail15normal_iteratorINS7_10device_ptrISA_EEEEPSB_PKSB_NS0_5tupleIJSI_SB_EEENSM_IJSJ_SJ_EEENS0_18inequality_wrapperINS7_8equal_toISA_EEEEPmJSB_EEE10hipError_tPvRmT3_T4_T5_T6_T7_T9_mT8_P12ihipStream_tbDpT10_ENKUlT_T0_E_clISt17integral_constantIbLb1EES1C_IbLb0EEEEDaS18_S19_EUlS18_E_NS1_11comp_targetILNS1_3genE5ELNS1_11target_archE942ELNS1_3gpuE9ELNS1_3repE0EEENS1_30default_config_static_selectorELNS0_4arch9wavefront6targetE1EEEvT1_
		.amdhsa_group_segment_fixed_size 28680
		.amdhsa_private_segment_fixed_size 0
		.amdhsa_kernarg_size 112
		.amdhsa_user_sgpr_count 2
		.amdhsa_user_sgpr_dispatch_ptr 0
		.amdhsa_user_sgpr_queue_ptr 0
		.amdhsa_user_sgpr_kernarg_segment_ptr 1
		.amdhsa_user_sgpr_dispatch_id 0
		.amdhsa_user_sgpr_kernarg_preload_length 0
		.amdhsa_user_sgpr_kernarg_preload_offset 0
		.amdhsa_user_sgpr_private_segment_size 0
		.amdhsa_uses_dynamic_stack 0
		.amdhsa_enable_private_segment 0
		.amdhsa_system_sgpr_workgroup_id_x 1
		.amdhsa_system_sgpr_workgroup_id_y 0
		.amdhsa_system_sgpr_workgroup_id_z 0
		.amdhsa_system_sgpr_workgroup_info 0
		.amdhsa_system_vgpr_workitem_id 0
		.amdhsa_next_free_vgpr 72
		.amdhsa_next_free_sgpr 44
		.amdhsa_accum_offset 72
		.amdhsa_reserve_vcc 1
		.amdhsa_float_round_mode_32 0
		.amdhsa_float_round_mode_16_64 0
		.amdhsa_float_denorm_mode_32 3
		.amdhsa_float_denorm_mode_16_64 3
		.amdhsa_dx10_clamp 1
		.amdhsa_ieee_mode 1
		.amdhsa_fp16_overflow 0
		.amdhsa_tg_split 0
		.amdhsa_exception_fp_ieee_invalid_op 0
		.amdhsa_exception_fp_denorm_src 0
		.amdhsa_exception_fp_ieee_div_zero 0
		.amdhsa_exception_fp_ieee_overflow 0
		.amdhsa_exception_fp_ieee_underflow 0
		.amdhsa_exception_fp_ieee_inexact 0
		.amdhsa_exception_int_div_zero 0
	.end_amdhsa_kernel
	.section	.text._ZN7rocprim17ROCPRIM_400000_NS6detail17trampoline_kernelINS0_14default_configENS1_25partition_config_selectorILNS1_17partition_subalgoE8EN6thrust23THRUST_200600_302600_NS5tupleIffNS7_9null_typeES9_S9_S9_S9_S9_S9_S9_EENS0_10empty_typeEbEEZZNS1_14partition_implILS5_8ELb0ES3_jNS7_6detail15normal_iteratorINS7_10device_ptrISA_EEEEPSB_PKSB_NS0_5tupleIJSI_SB_EEENSM_IJSJ_SJ_EEENS0_18inequality_wrapperINS7_8equal_toISA_EEEEPmJSB_EEE10hipError_tPvRmT3_T4_T5_T6_T7_T9_mT8_P12ihipStream_tbDpT10_ENKUlT_T0_E_clISt17integral_constantIbLb1EES1C_IbLb0EEEEDaS18_S19_EUlS18_E_NS1_11comp_targetILNS1_3genE5ELNS1_11target_archE942ELNS1_3gpuE9ELNS1_3repE0EEENS1_30default_config_static_selectorELNS0_4arch9wavefront6targetE1EEEvT1_,"axG",@progbits,_ZN7rocprim17ROCPRIM_400000_NS6detail17trampoline_kernelINS0_14default_configENS1_25partition_config_selectorILNS1_17partition_subalgoE8EN6thrust23THRUST_200600_302600_NS5tupleIffNS7_9null_typeES9_S9_S9_S9_S9_S9_S9_EENS0_10empty_typeEbEEZZNS1_14partition_implILS5_8ELb0ES3_jNS7_6detail15normal_iteratorINS7_10device_ptrISA_EEEEPSB_PKSB_NS0_5tupleIJSI_SB_EEENSM_IJSJ_SJ_EEENS0_18inequality_wrapperINS7_8equal_toISA_EEEEPmJSB_EEE10hipError_tPvRmT3_T4_T5_T6_T7_T9_mT8_P12ihipStream_tbDpT10_ENKUlT_T0_E_clISt17integral_constantIbLb1EES1C_IbLb0EEEEDaS18_S19_EUlS18_E_NS1_11comp_targetILNS1_3genE5ELNS1_11target_archE942ELNS1_3gpuE9ELNS1_3repE0EEENS1_30default_config_static_selectorELNS0_4arch9wavefront6targetE1EEEvT1_,comdat
.Lfunc_end121:
	.size	_ZN7rocprim17ROCPRIM_400000_NS6detail17trampoline_kernelINS0_14default_configENS1_25partition_config_selectorILNS1_17partition_subalgoE8EN6thrust23THRUST_200600_302600_NS5tupleIffNS7_9null_typeES9_S9_S9_S9_S9_S9_S9_EENS0_10empty_typeEbEEZZNS1_14partition_implILS5_8ELb0ES3_jNS7_6detail15normal_iteratorINS7_10device_ptrISA_EEEEPSB_PKSB_NS0_5tupleIJSI_SB_EEENSM_IJSJ_SJ_EEENS0_18inequality_wrapperINS7_8equal_toISA_EEEEPmJSB_EEE10hipError_tPvRmT3_T4_T5_T6_T7_T9_mT8_P12ihipStream_tbDpT10_ENKUlT_T0_E_clISt17integral_constantIbLb1EES1C_IbLb0EEEEDaS18_S19_EUlS18_E_NS1_11comp_targetILNS1_3genE5ELNS1_11target_archE942ELNS1_3gpuE9ELNS1_3repE0EEENS1_30default_config_static_selectorELNS0_4arch9wavefront6targetE1EEEvT1_, .Lfunc_end121-_ZN7rocprim17ROCPRIM_400000_NS6detail17trampoline_kernelINS0_14default_configENS1_25partition_config_selectorILNS1_17partition_subalgoE8EN6thrust23THRUST_200600_302600_NS5tupleIffNS7_9null_typeES9_S9_S9_S9_S9_S9_S9_EENS0_10empty_typeEbEEZZNS1_14partition_implILS5_8ELb0ES3_jNS7_6detail15normal_iteratorINS7_10device_ptrISA_EEEEPSB_PKSB_NS0_5tupleIJSI_SB_EEENSM_IJSJ_SJ_EEENS0_18inequality_wrapperINS7_8equal_toISA_EEEEPmJSB_EEE10hipError_tPvRmT3_T4_T5_T6_T7_T9_mT8_P12ihipStream_tbDpT10_ENKUlT_T0_E_clISt17integral_constantIbLb1EES1C_IbLb0EEEEDaS18_S19_EUlS18_E_NS1_11comp_targetILNS1_3genE5ELNS1_11target_archE942ELNS1_3gpuE9ELNS1_3repE0EEENS1_30default_config_static_selectorELNS0_4arch9wavefront6targetE1EEEvT1_
                                        ; -- End function
	.section	.AMDGPU.csdata,"",@progbits
; Kernel info:
; codeLenInByte = 6672
; NumSgprs: 50
; NumVgprs: 72
; NumAgprs: 0
; TotalNumVgprs: 72
; ScratchSize: 0
; MemoryBound: 0
; FloatMode: 240
; IeeeMode: 1
; LDSByteSize: 28680 bytes/workgroup (compile time only)
; SGPRBlocks: 6
; VGPRBlocks: 8
; NumSGPRsForWavesPerEU: 50
; NumVGPRsForWavesPerEU: 72
; AccumOffset: 72
; Occupancy: 4
; WaveLimiterHint : 1
; COMPUTE_PGM_RSRC2:SCRATCH_EN: 0
; COMPUTE_PGM_RSRC2:USER_SGPR: 2
; COMPUTE_PGM_RSRC2:TRAP_HANDLER: 0
; COMPUTE_PGM_RSRC2:TGID_X_EN: 1
; COMPUTE_PGM_RSRC2:TGID_Y_EN: 0
; COMPUTE_PGM_RSRC2:TGID_Z_EN: 0
; COMPUTE_PGM_RSRC2:TIDIG_COMP_CNT: 0
; COMPUTE_PGM_RSRC3_GFX90A:ACCUM_OFFSET: 17
; COMPUTE_PGM_RSRC3_GFX90A:TG_SPLIT: 0
	.section	.text._ZN7rocprim17ROCPRIM_400000_NS6detail17trampoline_kernelINS0_14default_configENS1_25partition_config_selectorILNS1_17partition_subalgoE8EN6thrust23THRUST_200600_302600_NS5tupleIffNS7_9null_typeES9_S9_S9_S9_S9_S9_S9_EENS0_10empty_typeEbEEZZNS1_14partition_implILS5_8ELb0ES3_jNS7_6detail15normal_iteratorINS7_10device_ptrISA_EEEEPSB_PKSB_NS0_5tupleIJSI_SB_EEENSM_IJSJ_SJ_EEENS0_18inequality_wrapperINS7_8equal_toISA_EEEEPmJSB_EEE10hipError_tPvRmT3_T4_T5_T6_T7_T9_mT8_P12ihipStream_tbDpT10_ENKUlT_T0_E_clISt17integral_constantIbLb1EES1C_IbLb0EEEEDaS18_S19_EUlS18_E_NS1_11comp_targetILNS1_3genE4ELNS1_11target_archE910ELNS1_3gpuE8ELNS1_3repE0EEENS1_30default_config_static_selectorELNS0_4arch9wavefront6targetE1EEEvT1_,"axG",@progbits,_ZN7rocprim17ROCPRIM_400000_NS6detail17trampoline_kernelINS0_14default_configENS1_25partition_config_selectorILNS1_17partition_subalgoE8EN6thrust23THRUST_200600_302600_NS5tupleIffNS7_9null_typeES9_S9_S9_S9_S9_S9_S9_EENS0_10empty_typeEbEEZZNS1_14partition_implILS5_8ELb0ES3_jNS7_6detail15normal_iteratorINS7_10device_ptrISA_EEEEPSB_PKSB_NS0_5tupleIJSI_SB_EEENSM_IJSJ_SJ_EEENS0_18inequality_wrapperINS7_8equal_toISA_EEEEPmJSB_EEE10hipError_tPvRmT3_T4_T5_T6_T7_T9_mT8_P12ihipStream_tbDpT10_ENKUlT_T0_E_clISt17integral_constantIbLb1EES1C_IbLb0EEEEDaS18_S19_EUlS18_E_NS1_11comp_targetILNS1_3genE4ELNS1_11target_archE910ELNS1_3gpuE8ELNS1_3repE0EEENS1_30default_config_static_selectorELNS0_4arch9wavefront6targetE1EEEvT1_,comdat
	.protected	_ZN7rocprim17ROCPRIM_400000_NS6detail17trampoline_kernelINS0_14default_configENS1_25partition_config_selectorILNS1_17partition_subalgoE8EN6thrust23THRUST_200600_302600_NS5tupleIffNS7_9null_typeES9_S9_S9_S9_S9_S9_S9_EENS0_10empty_typeEbEEZZNS1_14partition_implILS5_8ELb0ES3_jNS7_6detail15normal_iteratorINS7_10device_ptrISA_EEEEPSB_PKSB_NS0_5tupleIJSI_SB_EEENSM_IJSJ_SJ_EEENS0_18inequality_wrapperINS7_8equal_toISA_EEEEPmJSB_EEE10hipError_tPvRmT3_T4_T5_T6_T7_T9_mT8_P12ihipStream_tbDpT10_ENKUlT_T0_E_clISt17integral_constantIbLb1EES1C_IbLb0EEEEDaS18_S19_EUlS18_E_NS1_11comp_targetILNS1_3genE4ELNS1_11target_archE910ELNS1_3gpuE8ELNS1_3repE0EEENS1_30default_config_static_selectorELNS0_4arch9wavefront6targetE1EEEvT1_ ; -- Begin function _ZN7rocprim17ROCPRIM_400000_NS6detail17trampoline_kernelINS0_14default_configENS1_25partition_config_selectorILNS1_17partition_subalgoE8EN6thrust23THRUST_200600_302600_NS5tupleIffNS7_9null_typeES9_S9_S9_S9_S9_S9_S9_EENS0_10empty_typeEbEEZZNS1_14partition_implILS5_8ELb0ES3_jNS7_6detail15normal_iteratorINS7_10device_ptrISA_EEEEPSB_PKSB_NS0_5tupleIJSI_SB_EEENSM_IJSJ_SJ_EEENS0_18inequality_wrapperINS7_8equal_toISA_EEEEPmJSB_EEE10hipError_tPvRmT3_T4_T5_T6_T7_T9_mT8_P12ihipStream_tbDpT10_ENKUlT_T0_E_clISt17integral_constantIbLb1EES1C_IbLb0EEEEDaS18_S19_EUlS18_E_NS1_11comp_targetILNS1_3genE4ELNS1_11target_archE910ELNS1_3gpuE8ELNS1_3repE0EEENS1_30default_config_static_selectorELNS0_4arch9wavefront6targetE1EEEvT1_
	.globl	_ZN7rocprim17ROCPRIM_400000_NS6detail17trampoline_kernelINS0_14default_configENS1_25partition_config_selectorILNS1_17partition_subalgoE8EN6thrust23THRUST_200600_302600_NS5tupleIffNS7_9null_typeES9_S9_S9_S9_S9_S9_S9_EENS0_10empty_typeEbEEZZNS1_14partition_implILS5_8ELb0ES3_jNS7_6detail15normal_iteratorINS7_10device_ptrISA_EEEEPSB_PKSB_NS0_5tupleIJSI_SB_EEENSM_IJSJ_SJ_EEENS0_18inequality_wrapperINS7_8equal_toISA_EEEEPmJSB_EEE10hipError_tPvRmT3_T4_T5_T6_T7_T9_mT8_P12ihipStream_tbDpT10_ENKUlT_T0_E_clISt17integral_constantIbLb1EES1C_IbLb0EEEEDaS18_S19_EUlS18_E_NS1_11comp_targetILNS1_3genE4ELNS1_11target_archE910ELNS1_3gpuE8ELNS1_3repE0EEENS1_30default_config_static_selectorELNS0_4arch9wavefront6targetE1EEEvT1_
	.p2align	8
	.type	_ZN7rocprim17ROCPRIM_400000_NS6detail17trampoline_kernelINS0_14default_configENS1_25partition_config_selectorILNS1_17partition_subalgoE8EN6thrust23THRUST_200600_302600_NS5tupleIffNS7_9null_typeES9_S9_S9_S9_S9_S9_S9_EENS0_10empty_typeEbEEZZNS1_14partition_implILS5_8ELb0ES3_jNS7_6detail15normal_iteratorINS7_10device_ptrISA_EEEEPSB_PKSB_NS0_5tupleIJSI_SB_EEENSM_IJSJ_SJ_EEENS0_18inequality_wrapperINS7_8equal_toISA_EEEEPmJSB_EEE10hipError_tPvRmT3_T4_T5_T6_T7_T9_mT8_P12ihipStream_tbDpT10_ENKUlT_T0_E_clISt17integral_constantIbLb1EES1C_IbLb0EEEEDaS18_S19_EUlS18_E_NS1_11comp_targetILNS1_3genE4ELNS1_11target_archE910ELNS1_3gpuE8ELNS1_3repE0EEENS1_30default_config_static_selectorELNS0_4arch9wavefront6targetE1EEEvT1_,@function
_ZN7rocprim17ROCPRIM_400000_NS6detail17trampoline_kernelINS0_14default_configENS1_25partition_config_selectorILNS1_17partition_subalgoE8EN6thrust23THRUST_200600_302600_NS5tupleIffNS7_9null_typeES9_S9_S9_S9_S9_S9_S9_EENS0_10empty_typeEbEEZZNS1_14partition_implILS5_8ELb0ES3_jNS7_6detail15normal_iteratorINS7_10device_ptrISA_EEEEPSB_PKSB_NS0_5tupleIJSI_SB_EEENSM_IJSJ_SJ_EEENS0_18inequality_wrapperINS7_8equal_toISA_EEEEPmJSB_EEE10hipError_tPvRmT3_T4_T5_T6_T7_T9_mT8_P12ihipStream_tbDpT10_ENKUlT_T0_E_clISt17integral_constantIbLb1EES1C_IbLb0EEEEDaS18_S19_EUlS18_E_NS1_11comp_targetILNS1_3genE4ELNS1_11target_archE910ELNS1_3gpuE8ELNS1_3repE0EEENS1_30default_config_static_selectorELNS0_4arch9wavefront6targetE1EEEvT1_: ; @_ZN7rocprim17ROCPRIM_400000_NS6detail17trampoline_kernelINS0_14default_configENS1_25partition_config_selectorILNS1_17partition_subalgoE8EN6thrust23THRUST_200600_302600_NS5tupleIffNS7_9null_typeES9_S9_S9_S9_S9_S9_S9_EENS0_10empty_typeEbEEZZNS1_14partition_implILS5_8ELb0ES3_jNS7_6detail15normal_iteratorINS7_10device_ptrISA_EEEEPSB_PKSB_NS0_5tupleIJSI_SB_EEENSM_IJSJ_SJ_EEENS0_18inequality_wrapperINS7_8equal_toISA_EEEEPmJSB_EEE10hipError_tPvRmT3_T4_T5_T6_T7_T9_mT8_P12ihipStream_tbDpT10_ENKUlT_T0_E_clISt17integral_constantIbLb1EES1C_IbLb0EEEEDaS18_S19_EUlS18_E_NS1_11comp_targetILNS1_3genE4ELNS1_11target_archE910ELNS1_3gpuE8ELNS1_3repE0EEENS1_30default_config_static_selectorELNS0_4arch9wavefront6targetE1EEEvT1_
; %bb.0:
	.section	.rodata,"a",@progbits
	.p2align	6, 0x0
	.amdhsa_kernel _ZN7rocprim17ROCPRIM_400000_NS6detail17trampoline_kernelINS0_14default_configENS1_25partition_config_selectorILNS1_17partition_subalgoE8EN6thrust23THRUST_200600_302600_NS5tupleIffNS7_9null_typeES9_S9_S9_S9_S9_S9_S9_EENS0_10empty_typeEbEEZZNS1_14partition_implILS5_8ELb0ES3_jNS7_6detail15normal_iteratorINS7_10device_ptrISA_EEEEPSB_PKSB_NS0_5tupleIJSI_SB_EEENSM_IJSJ_SJ_EEENS0_18inequality_wrapperINS7_8equal_toISA_EEEEPmJSB_EEE10hipError_tPvRmT3_T4_T5_T6_T7_T9_mT8_P12ihipStream_tbDpT10_ENKUlT_T0_E_clISt17integral_constantIbLb1EES1C_IbLb0EEEEDaS18_S19_EUlS18_E_NS1_11comp_targetILNS1_3genE4ELNS1_11target_archE910ELNS1_3gpuE8ELNS1_3repE0EEENS1_30default_config_static_selectorELNS0_4arch9wavefront6targetE1EEEvT1_
		.amdhsa_group_segment_fixed_size 0
		.amdhsa_private_segment_fixed_size 0
		.amdhsa_kernarg_size 112
		.amdhsa_user_sgpr_count 2
		.amdhsa_user_sgpr_dispatch_ptr 0
		.amdhsa_user_sgpr_queue_ptr 0
		.amdhsa_user_sgpr_kernarg_segment_ptr 1
		.amdhsa_user_sgpr_dispatch_id 0
		.amdhsa_user_sgpr_kernarg_preload_length 0
		.amdhsa_user_sgpr_kernarg_preload_offset 0
		.amdhsa_user_sgpr_private_segment_size 0
		.amdhsa_uses_dynamic_stack 0
		.amdhsa_enable_private_segment 0
		.amdhsa_system_sgpr_workgroup_id_x 1
		.amdhsa_system_sgpr_workgroup_id_y 0
		.amdhsa_system_sgpr_workgroup_id_z 0
		.amdhsa_system_sgpr_workgroup_info 0
		.amdhsa_system_vgpr_workitem_id 0
		.amdhsa_next_free_vgpr 1
		.amdhsa_next_free_sgpr 0
		.amdhsa_accum_offset 4
		.amdhsa_reserve_vcc 0
		.amdhsa_float_round_mode_32 0
		.amdhsa_float_round_mode_16_64 0
		.amdhsa_float_denorm_mode_32 3
		.amdhsa_float_denorm_mode_16_64 3
		.amdhsa_dx10_clamp 1
		.amdhsa_ieee_mode 1
		.amdhsa_fp16_overflow 0
		.amdhsa_tg_split 0
		.amdhsa_exception_fp_ieee_invalid_op 0
		.amdhsa_exception_fp_denorm_src 0
		.amdhsa_exception_fp_ieee_div_zero 0
		.amdhsa_exception_fp_ieee_overflow 0
		.amdhsa_exception_fp_ieee_underflow 0
		.amdhsa_exception_fp_ieee_inexact 0
		.amdhsa_exception_int_div_zero 0
	.end_amdhsa_kernel
	.section	.text._ZN7rocprim17ROCPRIM_400000_NS6detail17trampoline_kernelINS0_14default_configENS1_25partition_config_selectorILNS1_17partition_subalgoE8EN6thrust23THRUST_200600_302600_NS5tupleIffNS7_9null_typeES9_S9_S9_S9_S9_S9_S9_EENS0_10empty_typeEbEEZZNS1_14partition_implILS5_8ELb0ES3_jNS7_6detail15normal_iteratorINS7_10device_ptrISA_EEEEPSB_PKSB_NS0_5tupleIJSI_SB_EEENSM_IJSJ_SJ_EEENS0_18inequality_wrapperINS7_8equal_toISA_EEEEPmJSB_EEE10hipError_tPvRmT3_T4_T5_T6_T7_T9_mT8_P12ihipStream_tbDpT10_ENKUlT_T0_E_clISt17integral_constantIbLb1EES1C_IbLb0EEEEDaS18_S19_EUlS18_E_NS1_11comp_targetILNS1_3genE4ELNS1_11target_archE910ELNS1_3gpuE8ELNS1_3repE0EEENS1_30default_config_static_selectorELNS0_4arch9wavefront6targetE1EEEvT1_,"axG",@progbits,_ZN7rocprim17ROCPRIM_400000_NS6detail17trampoline_kernelINS0_14default_configENS1_25partition_config_selectorILNS1_17partition_subalgoE8EN6thrust23THRUST_200600_302600_NS5tupleIffNS7_9null_typeES9_S9_S9_S9_S9_S9_S9_EENS0_10empty_typeEbEEZZNS1_14partition_implILS5_8ELb0ES3_jNS7_6detail15normal_iteratorINS7_10device_ptrISA_EEEEPSB_PKSB_NS0_5tupleIJSI_SB_EEENSM_IJSJ_SJ_EEENS0_18inequality_wrapperINS7_8equal_toISA_EEEEPmJSB_EEE10hipError_tPvRmT3_T4_T5_T6_T7_T9_mT8_P12ihipStream_tbDpT10_ENKUlT_T0_E_clISt17integral_constantIbLb1EES1C_IbLb0EEEEDaS18_S19_EUlS18_E_NS1_11comp_targetILNS1_3genE4ELNS1_11target_archE910ELNS1_3gpuE8ELNS1_3repE0EEENS1_30default_config_static_selectorELNS0_4arch9wavefront6targetE1EEEvT1_,comdat
.Lfunc_end122:
	.size	_ZN7rocprim17ROCPRIM_400000_NS6detail17trampoline_kernelINS0_14default_configENS1_25partition_config_selectorILNS1_17partition_subalgoE8EN6thrust23THRUST_200600_302600_NS5tupleIffNS7_9null_typeES9_S9_S9_S9_S9_S9_S9_EENS0_10empty_typeEbEEZZNS1_14partition_implILS5_8ELb0ES3_jNS7_6detail15normal_iteratorINS7_10device_ptrISA_EEEEPSB_PKSB_NS0_5tupleIJSI_SB_EEENSM_IJSJ_SJ_EEENS0_18inequality_wrapperINS7_8equal_toISA_EEEEPmJSB_EEE10hipError_tPvRmT3_T4_T5_T6_T7_T9_mT8_P12ihipStream_tbDpT10_ENKUlT_T0_E_clISt17integral_constantIbLb1EES1C_IbLb0EEEEDaS18_S19_EUlS18_E_NS1_11comp_targetILNS1_3genE4ELNS1_11target_archE910ELNS1_3gpuE8ELNS1_3repE0EEENS1_30default_config_static_selectorELNS0_4arch9wavefront6targetE1EEEvT1_, .Lfunc_end122-_ZN7rocprim17ROCPRIM_400000_NS6detail17trampoline_kernelINS0_14default_configENS1_25partition_config_selectorILNS1_17partition_subalgoE8EN6thrust23THRUST_200600_302600_NS5tupleIffNS7_9null_typeES9_S9_S9_S9_S9_S9_S9_EENS0_10empty_typeEbEEZZNS1_14partition_implILS5_8ELb0ES3_jNS7_6detail15normal_iteratorINS7_10device_ptrISA_EEEEPSB_PKSB_NS0_5tupleIJSI_SB_EEENSM_IJSJ_SJ_EEENS0_18inequality_wrapperINS7_8equal_toISA_EEEEPmJSB_EEE10hipError_tPvRmT3_T4_T5_T6_T7_T9_mT8_P12ihipStream_tbDpT10_ENKUlT_T0_E_clISt17integral_constantIbLb1EES1C_IbLb0EEEEDaS18_S19_EUlS18_E_NS1_11comp_targetILNS1_3genE4ELNS1_11target_archE910ELNS1_3gpuE8ELNS1_3repE0EEENS1_30default_config_static_selectorELNS0_4arch9wavefront6targetE1EEEvT1_
                                        ; -- End function
	.section	.AMDGPU.csdata,"",@progbits
; Kernel info:
; codeLenInByte = 0
; NumSgprs: 6
; NumVgprs: 0
; NumAgprs: 0
; TotalNumVgprs: 0
; ScratchSize: 0
; MemoryBound: 0
; FloatMode: 240
; IeeeMode: 1
; LDSByteSize: 0 bytes/workgroup (compile time only)
; SGPRBlocks: 0
; VGPRBlocks: 0
; NumSGPRsForWavesPerEU: 6
; NumVGPRsForWavesPerEU: 1
; AccumOffset: 4
; Occupancy: 8
; WaveLimiterHint : 0
; COMPUTE_PGM_RSRC2:SCRATCH_EN: 0
; COMPUTE_PGM_RSRC2:USER_SGPR: 2
; COMPUTE_PGM_RSRC2:TRAP_HANDLER: 0
; COMPUTE_PGM_RSRC2:TGID_X_EN: 1
; COMPUTE_PGM_RSRC2:TGID_Y_EN: 0
; COMPUTE_PGM_RSRC2:TGID_Z_EN: 0
; COMPUTE_PGM_RSRC2:TIDIG_COMP_CNT: 0
; COMPUTE_PGM_RSRC3_GFX90A:ACCUM_OFFSET: 0
; COMPUTE_PGM_RSRC3_GFX90A:TG_SPLIT: 0
	.section	.text._ZN7rocprim17ROCPRIM_400000_NS6detail17trampoline_kernelINS0_14default_configENS1_25partition_config_selectorILNS1_17partition_subalgoE8EN6thrust23THRUST_200600_302600_NS5tupleIffNS7_9null_typeES9_S9_S9_S9_S9_S9_S9_EENS0_10empty_typeEbEEZZNS1_14partition_implILS5_8ELb0ES3_jNS7_6detail15normal_iteratorINS7_10device_ptrISA_EEEEPSB_PKSB_NS0_5tupleIJSI_SB_EEENSM_IJSJ_SJ_EEENS0_18inequality_wrapperINS7_8equal_toISA_EEEEPmJSB_EEE10hipError_tPvRmT3_T4_T5_T6_T7_T9_mT8_P12ihipStream_tbDpT10_ENKUlT_T0_E_clISt17integral_constantIbLb1EES1C_IbLb0EEEEDaS18_S19_EUlS18_E_NS1_11comp_targetILNS1_3genE3ELNS1_11target_archE908ELNS1_3gpuE7ELNS1_3repE0EEENS1_30default_config_static_selectorELNS0_4arch9wavefront6targetE1EEEvT1_,"axG",@progbits,_ZN7rocprim17ROCPRIM_400000_NS6detail17trampoline_kernelINS0_14default_configENS1_25partition_config_selectorILNS1_17partition_subalgoE8EN6thrust23THRUST_200600_302600_NS5tupleIffNS7_9null_typeES9_S9_S9_S9_S9_S9_S9_EENS0_10empty_typeEbEEZZNS1_14partition_implILS5_8ELb0ES3_jNS7_6detail15normal_iteratorINS7_10device_ptrISA_EEEEPSB_PKSB_NS0_5tupleIJSI_SB_EEENSM_IJSJ_SJ_EEENS0_18inequality_wrapperINS7_8equal_toISA_EEEEPmJSB_EEE10hipError_tPvRmT3_T4_T5_T6_T7_T9_mT8_P12ihipStream_tbDpT10_ENKUlT_T0_E_clISt17integral_constantIbLb1EES1C_IbLb0EEEEDaS18_S19_EUlS18_E_NS1_11comp_targetILNS1_3genE3ELNS1_11target_archE908ELNS1_3gpuE7ELNS1_3repE0EEENS1_30default_config_static_selectorELNS0_4arch9wavefront6targetE1EEEvT1_,comdat
	.protected	_ZN7rocprim17ROCPRIM_400000_NS6detail17trampoline_kernelINS0_14default_configENS1_25partition_config_selectorILNS1_17partition_subalgoE8EN6thrust23THRUST_200600_302600_NS5tupleIffNS7_9null_typeES9_S9_S9_S9_S9_S9_S9_EENS0_10empty_typeEbEEZZNS1_14partition_implILS5_8ELb0ES3_jNS7_6detail15normal_iteratorINS7_10device_ptrISA_EEEEPSB_PKSB_NS0_5tupleIJSI_SB_EEENSM_IJSJ_SJ_EEENS0_18inequality_wrapperINS7_8equal_toISA_EEEEPmJSB_EEE10hipError_tPvRmT3_T4_T5_T6_T7_T9_mT8_P12ihipStream_tbDpT10_ENKUlT_T0_E_clISt17integral_constantIbLb1EES1C_IbLb0EEEEDaS18_S19_EUlS18_E_NS1_11comp_targetILNS1_3genE3ELNS1_11target_archE908ELNS1_3gpuE7ELNS1_3repE0EEENS1_30default_config_static_selectorELNS0_4arch9wavefront6targetE1EEEvT1_ ; -- Begin function _ZN7rocprim17ROCPRIM_400000_NS6detail17trampoline_kernelINS0_14default_configENS1_25partition_config_selectorILNS1_17partition_subalgoE8EN6thrust23THRUST_200600_302600_NS5tupleIffNS7_9null_typeES9_S9_S9_S9_S9_S9_S9_EENS0_10empty_typeEbEEZZNS1_14partition_implILS5_8ELb0ES3_jNS7_6detail15normal_iteratorINS7_10device_ptrISA_EEEEPSB_PKSB_NS0_5tupleIJSI_SB_EEENSM_IJSJ_SJ_EEENS0_18inequality_wrapperINS7_8equal_toISA_EEEEPmJSB_EEE10hipError_tPvRmT3_T4_T5_T6_T7_T9_mT8_P12ihipStream_tbDpT10_ENKUlT_T0_E_clISt17integral_constantIbLb1EES1C_IbLb0EEEEDaS18_S19_EUlS18_E_NS1_11comp_targetILNS1_3genE3ELNS1_11target_archE908ELNS1_3gpuE7ELNS1_3repE0EEENS1_30default_config_static_selectorELNS0_4arch9wavefront6targetE1EEEvT1_
	.globl	_ZN7rocprim17ROCPRIM_400000_NS6detail17trampoline_kernelINS0_14default_configENS1_25partition_config_selectorILNS1_17partition_subalgoE8EN6thrust23THRUST_200600_302600_NS5tupleIffNS7_9null_typeES9_S9_S9_S9_S9_S9_S9_EENS0_10empty_typeEbEEZZNS1_14partition_implILS5_8ELb0ES3_jNS7_6detail15normal_iteratorINS7_10device_ptrISA_EEEEPSB_PKSB_NS0_5tupleIJSI_SB_EEENSM_IJSJ_SJ_EEENS0_18inequality_wrapperINS7_8equal_toISA_EEEEPmJSB_EEE10hipError_tPvRmT3_T4_T5_T6_T7_T9_mT8_P12ihipStream_tbDpT10_ENKUlT_T0_E_clISt17integral_constantIbLb1EES1C_IbLb0EEEEDaS18_S19_EUlS18_E_NS1_11comp_targetILNS1_3genE3ELNS1_11target_archE908ELNS1_3gpuE7ELNS1_3repE0EEENS1_30default_config_static_selectorELNS0_4arch9wavefront6targetE1EEEvT1_
	.p2align	8
	.type	_ZN7rocprim17ROCPRIM_400000_NS6detail17trampoline_kernelINS0_14default_configENS1_25partition_config_selectorILNS1_17partition_subalgoE8EN6thrust23THRUST_200600_302600_NS5tupleIffNS7_9null_typeES9_S9_S9_S9_S9_S9_S9_EENS0_10empty_typeEbEEZZNS1_14partition_implILS5_8ELb0ES3_jNS7_6detail15normal_iteratorINS7_10device_ptrISA_EEEEPSB_PKSB_NS0_5tupleIJSI_SB_EEENSM_IJSJ_SJ_EEENS0_18inequality_wrapperINS7_8equal_toISA_EEEEPmJSB_EEE10hipError_tPvRmT3_T4_T5_T6_T7_T9_mT8_P12ihipStream_tbDpT10_ENKUlT_T0_E_clISt17integral_constantIbLb1EES1C_IbLb0EEEEDaS18_S19_EUlS18_E_NS1_11comp_targetILNS1_3genE3ELNS1_11target_archE908ELNS1_3gpuE7ELNS1_3repE0EEENS1_30default_config_static_selectorELNS0_4arch9wavefront6targetE1EEEvT1_,@function
_ZN7rocprim17ROCPRIM_400000_NS6detail17trampoline_kernelINS0_14default_configENS1_25partition_config_selectorILNS1_17partition_subalgoE8EN6thrust23THRUST_200600_302600_NS5tupleIffNS7_9null_typeES9_S9_S9_S9_S9_S9_S9_EENS0_10empty_typeEbEEZZNS1_14partition_implILS5_8ELb0ES3_jNS7_6detail15normal_iteratorINS7_10device_ptrISA_EEEEPSB_PKSB_NS0_5tupleIJSI_SB_EEENSM_IJSJ_SJ_EEENS0_18inequality_wrapperINS7_8equal_toISA_EEEEPmJSB_EEE10hipError_tPvRmT3_T4_T5_T6_T7_T9_mT8_P12ihipStream_tbDpT10_ENKUlT_T0_E_clISt17integral_constantIbLb1EES1C_IbLb0EEEEDaS18_S19_EUlS18_E_NS1_11comp_targetILNS1_3genE3ELNS1_11target_archE908ELNS1_3gpuE7ELNS1_3repE0EEENS1_30default_config_static_selectorELNS0_4arch9wavefront6targetE1EEEvT1_: ; @_ZN7rocprim17ROCPRIM_400000_NS6detail17trampoline_kernelINS0_14default_configENS1_25partition_config_selectorILNS1_17partition_subalgoE8EN6thrust23THRUST_200600_302600_NS5tupleIffNS7_9null_typeES9_S9_S9_S9_S9_S9_S9_EENS0_10empty_typeEbEEZZNS1_14partition_implILS5_8ELb0ES3_jNS7_6detail15normal_iteratorINS7_10device_ptrISA_EEEEPSB_PKSB_NS0_5tupleIJSI_SB_EEENSM_IJSJ_SJ_EEENS0_18inequality_wrapperINS7_8equal_toISA_EEEEPmJSB_EEE10hipError_tPvRmT3_T4_T5_T6_T7_T9_mT8_P12ihipStream_tbDpT10_ENKUlT_T0_E_clISt17integral_constantIbLb1EES1C_IbLb0EEEEDaS18_S19_EUlS18_E_NS1_11comp_targetILNS1_3genE3ELNS1_11target_archE908ELNS1_3gpuE7ELNS1_3repE0EEENS1_30default_config_static_selectorELNS0_4arch9wavefront6targetE1EEEvT1_
; %bb.0:
	.section	.rodata,"a",@progbits
	.p2align	6, 0x0
	.amdhsa_kernel _ZN7rocprim17ROCPRIM_400000_NS6detail17trampoline_kernelINS0_14default_configENS1_25partition_config_selectorILNS1_17partition_subalgoE8EN6thrust23THRUST_200600_302600_NS5tupleIffNS7_9null_typeES9_S9_S9_S9_S9_S9_S9_EENS0_10empty_typeEbEEZZNS1_14partition_implILS5_8ELb0ES3_jNS7_6detail15normal_iteratorINS7_10device_ptrISA_EEEEPSB_PKSB_NS0_5tupleIJSI_SB_EEENSM_IJSJ_SJ_EEENS0_18inequality_wrapperINS7_8equal_toISA_EEEEPmJSB_EEE10hipError_tPvRmT3_T4_T5_T6_T7_T9_mT8_P12ihipStream_tbDpT10_ENKUlT_T0_E_clISt17integral_constantIbLb1EES1C_IbLb0EEEEDaS18_S19_EUlS18_E_NS1_11comp_targetILNS1_3genE3ELNS1_11target_archE908ELNS1_3gpuE7ELNS1_3repE0EEENS1_30default_config_static_selectorELNS0_4arch9wavefront6targetE1EEEvT1_
		.amdhsa_group_segment_fixed_size 0
		.amdhsa_private_segment_fixed_size 0
		.amdhsa_kernarg_size 112
		.amdhsa_user_sgpr_count 2
		.amdhsa_user_sgpr_dispatch_ptr 0
		.amdhsa_user_sgpr_queue_ptr 0
		.amdhsa_user_sgpr_kernarg_segment_ptr 1
		.amdhsa_user_sgpr_dispatch_id 0
		.amdhsa_user_sgpr_kernarg_preload_length 0
		.amdhsa_user_sgpr_kernarg_preload_offset 0
		.amdhsa_user_sgpr_private_segment_size 0
		.amdhsa_uses_dynamic_stack 0
		.amdhsa_enable_private_segment 0
		.amdhsa_system_sgpr_workgroup_id_x 1
		.amdhsa_system_sgpr_workgroup_id_y 0
		.amdhsa_system_sgpr_workgroup_id_z 0
		.amdhsa_system_sgpr_workgroup_info 0
		.amdhsa_system_vgpr_workitem_id 0
		.amdhsa_next_free_vgpr 1
		.amdhsa_next_free_sgpr 0
		.amdhsa_accum_offset 4
		.amdhsa_reserve_vcc 0
		.amdhsa_float_round_mode_32 0
		.amdhsa_float_round_mode_16_64 0
		.amdhsa_float_denorm_mode_32 3
		.amdhsa_float_denorm_mode_16_64 3
		.amdhsa_dx10_clamp 1
		.amdhsa_ieee_mode 1
		.amdhsa_fp16_overflow 0
		.amdhsa_tg_split 0
		.amdhsa_exception_fp_ieee_invalid_op 0
		.amdhsa_exception_fp_denorm_src 0
		.amdhsa_exception_fp_ieee_div_zero 0
		.amdhsa_exception_fp_ieee_overflow 0
		.amdhsa_exception_fp_ieee_underflow 0
		.amdhsa_exception_fp_ieee_inexact 0
		.amdhsa_exception_int_div_zero 0
	.end_amdhsa_kernel
	.section	.text._ZN7rocprim17ROCPRIM_400000_NS6detail17trampoline_kernelINS0_14default_configENS1_25partition_config_selectorILNS1_17partition_subalgoE8EN6thrust23THRUST_200600_302600_NS5tupleIffNS7_9null_typeES9_S9_S9_S9_S9_S9_S9_EENS0_10empty_typeEbEEZZNS1_14partition_implILS5_8ELb0ES3_jNS7_6detail15normal_iteratorINS7_10device_ptrISA_EEEEPSB_PKSB_NS0_5tupleIJSI_SB_EEENSM_IJSJ_SJ_EEENS0_18inequality_wrapperINS7_8equal_toISA_EEEEPmJSB_EEE10hipError_tPvRmT3_T4_T5_T6_T7_T9_mT8_P12ihipStream_tbDpT10_ENKUlT_T0_E_clISt17integral_constantIbLb1EES1C_IbLb0EEEEDaS18_S19_EUlS18_E_NS1_11comp_targetILNS1_3genE3ELNS1_11target_archE908ELNS1_3gpuE7ELNS1_3repE0EEENS1_30default_config_static_selectorELNS0_4arch9wavefront6targetE1EEEvT1_,"axG",@progbits,_ZN7rocprim17ROCPRIM_400000_NS6detail17trampoline_kernelINS0_14default_configENS1_25partition_config_selectorILNS1_17partition_subalgoE8EN6thrust23THRUST_200600_302600_NS5tupleIffNS7_9null_typeES9_S9_S9_S9_S9_S9_S9_EENS0_10empty_typeEbEEZZNS1_14partition_implILS5_8ELb0ES3_jNS7_6detail15normal_iteratorINS7_10device_ptrISA_EEEEPSB_PKSB_NS0_5tupleIJSI_SB_EEENSM_IJSJ_SJ_EEENS0_18inequality_wrapperINS7_8equal_toISA_EEEEPmJSB_EEE10hipError_tPvRmT3_T4_T5_T6_T7_T9_mT8_P12ihipStream_tbDpT10_ENKUlT_T0_E_clISt17integral_constantIbLb1EES1C_IbLb0EEEEDaS18_S19_EUlS18_E_NS1_11comp_targetILNS1_3genE3ELNS1_11target_archE908ELNS1_3gpuE7ELNS1_3repE0EEENS1_30default_config_static_selectorELNS0_4arch9wavefront6targetE1EEEvT1_,comdat
.Lfunc_end123:
	.size	_ZN7rocprim17ROCPRIM_400000_NS6detail17trampoline_kernelINS0_14default_configENS1_25partition_config_selectorILNS1_17partition_subalgoE8EN6thrust23THRUST_200600_302600_NS5tupleIffNS7_9null_typeES9_S9_S9_S9_S9_S9_S9_EENS0_10empty_typeEbEEZZNS1_14partition_implILS5_8ELb0ES3_jNS7_6detail15normal_iteratorINS7_10device_ptrISA_EEEEPSB_PKSB_NS0_5tupleIJSI_SB_EEENSM_IJSJ_SJ_EEENS0_18inequality_wrapperINS7_8equal_toISA_EEEEPmJSB_EEE10hipError_tPvRmT3_T4_T5_T6_T7_T9_mT8_P12ihipStream_tbDpT10_ENKUlT_T0_E_clISt17integral_constantIbLb1EES1C_IbLb0EEEEDaS18_S19_EUlS18_E_NS1_11comp_targetILNS1_3genE3ELNS1_11target_archE908ELNS1_3gpuE7ELNS1_3repE0EEENS1_30default_config_static_selectorELNS0_4arch9wavefront6targetE1EEEvT1_, .Lfunc_end123-_ZN7rocprim17ROCPRIM_400000_NS6detail17trampoline_kernelINS0_14default_configENS1_25partition_config_selectorILNS1_17partition_subalgoE8EN6thrust23THRUST_200600_302600_NS5tupleIffNS7_9null_typeES9_S9_S9_S9_S9_S9_S9_EENS0_10empty_typeEbEEZZNS1_14partition_implILS5_8ELb0ES3_jNS7_6detail15normal_iteratorINS7_10device_ptrISA_EEEEPSB_PKSB_NS0_5tupleIJSI_SB_EEENSM_IJSJ_SJ_EEENS0_18inequality_wrapperINS7_8equal_toISA_EEEEPmJSB_EEE10hipError_tPvRmT3_T4_T5_T6_T7_T9_mT8_P12ihipStream_tbDpT10_ENKUlT_T0_E_clISt17integral_constantIbLb1EES1C_IbLb0EEEEDaS18_S19_EUlS18_E_NS1_11comp_targetILNS1_3genE3ELNS1_11target_archE908ELNS1_3gpuE7ELNS1_3repE0EEENS1_30default_config_static_selectorELNS0_4arch9wavefront6targetE1EEEvT1_
                                        ; -- End function
	.section	.AMDGPU.csdata,"",@progbits
; Kernel info:
; codeLenInByte = 0
; NumSgprs: 6
; NumVgprs: 0
; NumAgprs: 0
; TotalNumVgprs: 0
; ScratchSize: 0
; MemoryBound: 0
; FloatMode: 240
; IeeeMode: 1
; LDSByteSize: 0 bytes/workgroup (compile time only)
; SGPRBlocks: 0
; VGPRBlocks: 0
; NumSGPRsForWavesPerEU: 6
; NumVGPRsForWavesPerEU: 1
; AccumOffset: 4
; Occupancy: 8
; WaveLimiterHint : 0
; COMPUTE_PGM_RSRC2:SCRATCH_EN: 0
; COMPUTE_PGM_RSRC2:USER_SGPR: 2
; COMPUTE_PGM_RSRC2:TRAP_HANDLER: 0
; COMPUTE_PGM_RSRC2:TGID_X_EN: 1
; COMPUTE_PGM_RSRC2:TGID_Y_EN: 0
; COMPUTE_PGM_RSRC2:TGID_Z_EN: 0
; COMPUTE_PGM_RSRC2:TIDIG_COMP_CNT: 0
; COMPUTE_PGM_RSRC3_GFX90A:ACCUM_OFFSET: 0
; COMPUTE_PGM_RSRC3_GFX90A:TG_SPLIT: 0
	.section	.text._ZN7rocprim17ROCPRIM_400000_NS6detail17trampoline_kernelINS0_14default_configENS1_25partition_config_selectorILNS1_17partition_subalgoE8EN6thrust23THRUST_200600_302600_NS5tupleIffNS7_9null_typeES9_S9_S9_S9_S9_S9_S9_EENS0_10empty_typeEbEEZZNS1_14partition_implILS5_8ELb0ES3_jNS7_6detail15normal_iteratorINS7_10device_ptrISA_EEEEPSB_PKSB_NS0_5tupleIJSI_SB_EEENSM_IJSJ_SJ_EEENS0_18inequality_wrapperINS7_8equal_toISA_EEEEPmJSB_EEE10hipError_tPvRmT3_T4_T5_T6_T7_T9_mT8_P12ihipStream_tbDpT10_ENKUlT_T0_E_clISt17integral_constantIbLb1EES1C_IbLb0EEEEDaS18_S19_EUlS18_E_NS1_11comp_targetILNS1_3genE2ELNS1_11target_archE906ELNS1_3gpuE6ELNS1_3repE0EEENS1_30default_config_static_selectorELNS0_4arch9wavefront6targetE1EEEvT1_,"axG",@progbits,_ZN7rocprim17ROCPRIM_400000_NS6detail17trampoline_kernelINS0_14default_configENS1_25partition_config_selectorILNS1_17partition_subalgoE8EN6thrust23THRUST_200600_302600_NS5tupleIffNS7_9null_typeES9_S9_S9_S9_S9_S9_S9_EENS0_10empty_typeEbEEZZNS1_14partition_implILS5_8ELb0ES3_jNS7_6detail15normal_iteratorINS7_10device_ptrISA_EEEEPSB_PKSB_NS0_5tupleIJSI_SB_EEENSM_IJSJ_SJ_EEENS0_18inequality_wrapperINS7_8equal_toISA_EEEEPmJSB_EEE10hipError_tPvRmT3_T4_T5_T6_T7_T9_mT8_P12ihipStream_tbDpT10_ENKUlT_T0_E_clISt17integral_constantIbLb1EES1C_IbLb0EEEEDaS18_S19_EUlS18_E_NS1_11comp_targetILNS1_3genE2ELNS1_11target_archE906ELNS1_3gpuE6ELNS1_3repE0EEENS1_30default_config_static_selectorELNS0_4arch9wavefront6targetE1EEEvT1_,comdat
	.protected	_ZN7rocprim17ROCPRIM_400000_NS6detail17trampoline_kernelINS0_14default_configENS1_25partition_config_selectorILNS1_17partition_subalgoE8EN6thrust23THRUST_200600_302600_NS5tupleIffNS7_9null_typeES9_S9_S9_S9_S9_S9_S9_EENS0_10empty_typeEbEEZZNS1_14partition_implILS5_8ELb0ES3_jNS7_6detail15normal_iteratorINS7_10device_ptrISA_EEEEPSB_PKSB_NS0_5tupleIJSI_SB_EEENSM_IJSJ_SJ_EEENS0_18inequality_wrapperINS7_8equal_toISA_EEEEPmJSB_EEE10hipError_tPvRmT3_T4_T5_T6_T7_T9_mT8_P12ihipStream_tbDpT10_ENKUlT_T0_E_clISt17integral_constantIbLb1EES1C_IbLb0EEEEDaS18_S19_EUlS18_E_NS1_11comp_targetILNS1_3genE2ELNS1_11target_archE906ELNS1_3gpuE6ELNS1_3repE0EEENS1_30default_config_static_selectorELNS0_4arch9wavefront6targetE1EEEvT1_ ; -- Begin function _ZN7rocprim17ROCPRIM_400000_NS6detail17trampoline_kernelINS0_14default_configENS1_25partition_config_selectorILNS1_17partition_subalgoE8EN6thrust23THRUST_200600_302600_NS5tupleIffNS7_9null_typeES9_S9_S9_S9_S9_S9_S9_EENS0_10empty_typeEbEEZZNS1_14partition_implILS5_8ELb0ES3_jNS7_6detail15normal_iteratorINS7_10device_ptrISA_EEEEPSB_PKSB_NS0_5tupleIJSI_SB_EEENSM_IJSJ_SJ_EEENS0_18inequality_wrapperINS7_8equal_toISA_EEEEPmJSB_EEE10hipError_tPvRmT3_T4_T5_T6_T7_T9_mT8_P12ihipStream_tbDpT10_ENKUlT_T0_E_clISt17integral_constantIbLb1EES1C_IbLb0EEEEDaS18_S19_EUlS18_E_NS1_11comp_targetILNS1_3genE2ELNS1_11target_archE906ELNS1_3gpuE6ELNS1_3repE0EEENS1_30default_config_static_selectorELNS0_4arch9wavefront6targetE1EEEvT1_
	.globl	_ZN7rocprim17ROCPRIM_400000_NS6detail17trampoline_kernelINS0_14default_configENS1_25partition_config_selectorILNS1_17partition_subalgoE8EN6thrust23THRUST_200600_302600_NS5tupleIffNS7_9null_typeES9_S9_S9_S9_S9_S9_S9_EENS0_10empty_typeEbEEZZNS1_14partition_implILS5_8ELb0ES3_jNS7_6detail15normal_iteratorINS7_10device_ptrISA_EEEEPSB_PKSB_NS0_5tupleIJSI_SB_EEENSM_IJSJ_SJ_EEENS0_18inequality_wrapperINS7_8equal_toISA_EEEEPmJSB_EEE10hipError_tPvRmT3_T4_T5_T6_T7_T9_mT8_P12ihipStream_tbDpT10_ENKUlT_T0_E_clISt17integral_constantIbLb1EES1C_IbLb0EEEEDaS18_S19_EUlS18_E_NS1_11comp_targetILNS1_3genE2ELNS1_11target_archE906ELNS1_3gpuE6ELNS1_3repE0EEENS1_30default_config_static_selectorELNS0_4arch9wavefront6targetE1EEEvT1_
	.p2align	8
	.type	_ZN7rocprim17ROCPRIM_400000_NS6detail17trampoline_kernelINS0_14default_configENS1_25partition_config_selectorILNS1_17partition_subalgoE8EN6thrust23THRUST_200600_302600_NS5tupleIffNS7_9null_typeES9_S9_S9_S9_S9_S9_S9_EENS0_10empty_typeEbEEZZNS1_14partition_implILS5_8ELb0ES3_jNS7_6detail15normal_iteratorINS7_10device_ptrISA_EEEEPSB_PKSB_NS0_5tupleIJSI_SB_EEENSM_IJSJ_SJ_EEENS0_18inequality_wrapperINS7_8equal_toISA_EEEEPmJSB_EEE10hipError_tPvRmT3_T4_T5_T6_T7_T9_mT8_P12ihipStream_tbDpT10_ENKUlT_T0_E_clISt17integral_constantIbLb1EES1C_IbLb0EEEEDaS18_S19_EUlS18_E_NS1_11comp_targetILNS1_3genE2ELNS1_11target_archE906ELNS1_3gpuE6ELNS1_3repE0EEENS1_30default_config_static_selectorELNS0_4arch9wavefront6targetE1EEEvT1_,@function
_ZN7rocprim17ROCPRIM_400000_NS6detail17trampoline_kernelINS0_14default_configENS1_25partition_config_selectorILNS1_17partition_subalgoE8EN6thrust23THRUST_200600_302600_NS5tupleIffNS7_9null_typeES9_S9_S9_S9_S9_S9_S9_EENS0_10empty_typeEbEEZZNS1_14partition_implILS5_8ELb0ES3_jNS7_6detail15normal_iteratorINS7_10device_ptrISA_EEEEPSB_PKSB_NS0_5tupleIJSI_SB_EEENSM_IJSJ_SJ_EEENS0_18inequality_wrapperINS7_8equal_toISA_EEEEPmJSB_EEE10hipError_tPvRmT3_T4_T5_T6_T7_T9_mT8_P12ihipStream_tbDpT10_ENKUlT_T0_E_clISt17integral_constantIbLb1EES1C_IbLb0EEEEDaS18_S19_EUlS18_E_NS1_11comp_targetILNS1_3genE2ELNS1_11target_archE906ELNS1_3gpuE6ELNS1_3repE0EEENS1_30default_config_static_selectorELNS0_4arch9wavefront6targetE1EEEvT1_: ; @_ZN7rocprim17ROCPRIM_400000_NS6detail17trampoline_kernelINS0_14default_configENS1_25partition_config_selectorILNS1_17partition_subalgoE8EN6thrust23THRUST_200600_302600_NS5tupleIffNS7_9null_typeES9_S9_S9_S9_S9_S9_S9_EENS0_10empty_typeEbEEZZNS1_14partition_implILS5_8ELb0ES3_jNS7_6detail15normal_iteratorINS7_10device_ptrISA_EEEEPSB_PKSB_NS0_5tupleIJSI_SB_EEENSM_IJSJ_SJ_EEENS0_18inequality_wrapperINS7_8equal_toISA_EEEEPmJSB_EEE10hipError_tPvRmT3_T4_T5_T6_T7_T9_mT8_P12ihipStream_tbDpT10_ENKUlT_T0_E_clISt17integral_constantIbLb1EES1C_IbLb0EEEEDaS18_S19_EUlS18_E_NS1_11comp_targetILNS1_3genE2ELNS1_11target_archE906ELNS1_3gpuE6ELNS1_3repE0EEENS1_30default_config_static_selectorELNS0_4arch9wavefront6targetE1EEEvT1_
; %bb.0:
	.section	.rodata,"a",@progbits
	.p2align	6, 0x0
	.amdhsa_kernel _ZN7rocprim17ROCPRIM_400000_NS6detail17trampoline_kernelINS0_14default_configENS1_25partition_config_selectorILNS1_17partition_subalgoE8EN6thrust23THRUST_200600_302600_NS5tupleIffNS7_9null_typeES9_S9_S9_S9_S9_S9_S9_EENS0_10empty_typeEbEEZZNS1_14partition_implILS5_8ELb0ES3_jNS7_6detail15normal_iteratorINS7_10device_ptrISA_EEEEPSB_PKSB_NS0_5tupleIJSI_SB_EEENSM_IJSJ_SJ_EEENS0_18inequality_wrapperINS7_8equal_toISA_EEEEPmJSB_EEE10hipError_tPvRmT3_T4_T5_T6_T7_T9_mT8_P12ihipStream_tbDpT10_ENKUlT_T0_E_clISt17integral_constantIbLb1EES1C_IbLb0EEEEDaS18_S19_EUlS18_E_NS1_11comp_targetILNS1_3genE2ELNS1_11target_archE906ELNS1_3gpuE6ELNS1_3repE0EEENS1_30default_config_static_selectorELNS0_4arch9wavefront6targetE1EEEvT1_
		.amdhsa_group_segment_fixed_size 0
		.amdhsa_private_segment_fixed_size 0
		.amdhsa_kernarg_size 112
		.amdhsa_user_sgpr_count 2
		.amdhsa_user_sgpr_dispatch_ptr 0
		.amdhsa_user_sgpr_queue_ptr 0
		.amdhsa_user_sgpr_kernarg_segment_ptr 1
		.amdhsa_user_sgpr_dispatch_id 0
		.amdhsa_user_sgpr_kernarg_preload_length 0
		.amdhsa_user_sgpr_kernarg_preload_offset 0
		.amdhsa_user_sgpr_private_segment_size 0
		.amdhsa_uses_dynamic_stack 0
		.amdhsa_enable_private_segment 0
		.amdhsa_system_sgpr_workgroup_id_x 1
		.amdhsa_system_sgpr_workgroup_id_y 0
		.amdhsa_system_sgpr_workgroup_id_z 0
		.amdhsa_system_sgpr_workgroup_info 0
		.amdhsa_system_vgpr_workitem_id 0
		.amdhsa_next_free_vgpr 1
		.amdhsa_next_free_sgpr 0
		.amdhsa_accum_offset 4
		.amdhsa_reserve_vcc 0
		.amdhsa_float_round_mode_32 0
		.amdhsa_float_round_mode_16_64 0
		.amdhsa_float_denorm_mode_32 3
		.amdhsa_float_denorm_mode_16_64 3
		.amdhsa_dx10_clamp 1
		.amdhsa_ieee_mode 1
		.amdhsa_fp16_overflow 0
		.amdhsa_tg_split 0
		.amdhsa_exception_fp_ieee_invalid_op 0
		.amdhsa_exception_fp_denorm_src 0
		.amdhsa_exception_fp_ieee_div_zero 0
		.amdhsa_exception_fp_ieee_overflow 0
		.amdhsa_exception_fp_ieee_underflow 0
		.amdhsa_exception_fp_ieee_inexact 0
		.amdhsa_exception_int_div_zero 0
	.end_amdhsa_kernel
	.section	.text._ZN7rocprim17ROCPRIM_400000_NS6detail17trampoline_kernelINS0_14default_configENS1_25partition_config_selectorILNS1_17partition_subalgoE8EN6thrust23THRUST_200600_302600_NS5tupleIffNS7_9null_typeES9_S9_S9_S9_S9_S9_S9_EENS0_10empty_typeEbEEZZNS1_14partition_implILS5_8ELb0ES3_jNS7_6detail15normal_iteratorINS7_10device_ptrISA_EEEEPSB_PKSB_NS0_5tupleIJSI_SB_EEENSM_IJSJ_SJ_EEENS0_18inequality_wrapperINS7_8equal_toISA_EEEEPmJSB_EEE10hipError_tPvRmT3_T4_T5_T6_T7_T9_mT8_P12ihipStream_tbDpT10_ENKUlT_T0_E_clISt17integral_constantIbLb1EES1C_IbLb0EEEEDaS18_S19_EUlS18_E_NS1_11comp_targetILNS1_3genE2ELNS1_11target_archE906ELNS1_3gpuE6ELNS1_3repE0EEENS1_30default_config_static_selectorELNS0_4arch9wavefront6targetE1EEEvT1_,"axG",@progbits,_ZN7rocprim17ROCPRIM_400000_NS6detail17trampoline_kernelINS0_14default_configENS1_25partition_config_selectorILNS1_17partition_subalgoE8EN6thrust23THRUST_200600_302600_NS5tupleIffNS7_9null_typeES9_S9_S9_S9_S9_S9_S9_EENS0_10empty_typeEbEEZZNS1_14partition_implILS5_8ELb0ES3_jNS7_6detail15normal_iteratorINS7_10device_ptrISA_EEEEPSB_PKSB_NS0_5tupleIJSI_SB_EEENSM_IJSJ_SJ_EEENS0_18inequality_wrapperINS7_8equal_toISA_EEEEPmJSB_EEE10hipError_tPvRmT3_T4_T5_T6_T7_T9_mT8_P12ihipStream_tbDpT10_ENKUlT_T0_E_clISt17integral_constantIbLb1EES1C_IbLb0EEEEDaS18_S19_EUlS18_E_NS1_11comp_targetILNS1_3genE2ELNS1_11target_archE906ELNS1_3gpuE6ELNS1_3repE0EEENS1_30default_config_static_selectorELNS0_4arch9wavefront6targetE1EEEvT1_,comdat
.Lfunc_end124:
	.size	_ZN7rocprim17ROCPRIM_400000_NS6detail17trampoline_kernelINS0_14default_configENS1_25partition_config_selectorILNS1_17partition_subalgoE8EN6thrust23THRUST_200600_302600_NS5tupleIffNS7_9null_typeES9_S9_S9_S9_S9_S9_S9_EENS0_10empty_typeEbEEZZNS1_14partition_implILS5_8ELb0ES3_jNS7_6detail15normal_iteratorINS7_10device_ptrISA_EEEEPSB_PKSB_NS0_5tupleIJSI_SB_EEENSM_IJSJ_SJ_EEENS0_18inequality_wrapperINS7_8equal_toISA_EEEEPmJSB_EEE10hipError_tPvRmT3_T4_T5_T6_T7_T9_mT8_P12ihipStream_tbDpT10_ENKUlT_T0_E_clISt17integral_constantIbLb1EES1C_IbLb0EEEEDaS18_S19_EUlS18_E_NS1_11comp_targetILNS1_3genE2ELNS1_11target_archE906ELNS1_3gpuE6ELNS1_3repE0EEENS1_30default_config_static_selectorELNS0_4arch9wavefront6targetE1EEEvT1_, .Lfunc_end124-_ZN7rocprim17ROCPRIM_400000_NS6detail17trampoline_kernelINS0_14default_configENS1_25partition_config_selectorILNS1_17partition_subalgoE8EN6thrust23THRUST_200600_302600_NS5tupleIffNS7_9null_typeES9_S9_S9_S9_S9_S9_S9_EENS0_10empty_typeEbEEZZNS1_14partition_implILS5_8ELb0ES3_jNS7_6detail15normal_iteratorINS7_10device_ptrISA_EEEEPSB_PKSB_NS0_5tupleIJSI_SB_EEENSM_IJSJ_SJ_EEENS0_18inequality_wrapperINS7_8equal_toISA_EEEEPmJSB_EEE10hipError_tPvRmT3_T4_T5_T6_T7_T9_mT8_P12ihipStream_tbDpT10_ENKUlT_T0_E_clISt17integral_constantIbLb1EES1C_IbLb0EEEEDaS18_S19_EUlS18_E_NS1_11comp_targetILNS1_3genE2ELNS1_11target_archE906ELNS1_3gpuE6ELNS1_3repE0EEENS1_30default_config_static_selectorELNS0_4arch9wavefront6targetE1EEEvT1_
                                        ; -- End function
	.section	.AMDGPU.csdata,"",@progbits
; Kernel info:
; codeLenInByte = 0
; NumSgprs: 6
; NumVgprs: 0
; NumAgprs: 0
; TotalNumVgprs: 0
; ScratchSize: 0
; MemoryBound: 0
; FloatMode: 240
; IeeeMode: 1
; LDSByteSize: 0 bytes/workgroup (compile time only)
; SGPRBlocks: 0
; VGPRBlocks: 0
; NumSGPRsForWavesPerEU: 6
; NumVGPRsForWavesPerEU: 1
; AccumOffset: 4
; Occupancy: 8
; WaveLimiterHint : 0
; COMPUTE_PGM_RSRC2:SCRATCH_EN: 0
; COMPUTE_PGM_RSRC2:USER_SGPR: 2
; COMPUTE_PGM_RSRC2:TRAP_HANDLER: 0
; COMPUTE_PGM_RSRC2:TGID_X_EN: 1
; COMPUTE_PGM_RSRC2:TGID_Y_EN: 0
; COMPUTE_PGM_RSRC2:TGID_Z_EN: 0
; COMPUTE_PGM_RSRC2:TIDIG_COMP_CNT: 0
; COMPUTE_PGM_RSRC3_GFX90A:ACCUM_OFFSET: 0
; COMPUTE_PGM_RSRC3_GFX90A:TG_SPLIT: 0
	.section	.text._ZN7rocprim17ROCPRIM_400000_NS6detail17trampoline_kernelINS0_14default_configENS1_25partition_config_selectorILNS1_17partition_subalgoE8EN6thrust23THRUST_200600_302600_NS5tupleIffNS7_9null_typeES9_S9_S9_S9_S9_S9_S9_EENS0_10empty_typeEbEEZZNS1_14partition_implILS5_8ELb0ES3_jNS7_6detail15normal_iteratorINS7_10device_ptrISA_EEEEPSB_PKSB_NS0_5tupleIJSI_SB_EEENSM_IJSJ_SJ_EEENS0_18inequality_wrapperINS7_8equal_toISA_EEEEPmJSB_EEE10hipError_tPvRmT3_T4_T5_T6_T7_T9_mT8_P12ihipStream_tbDpT10_ENKUlT_T0_E_clISt17integral_constantIbLb1EES1C_IbLb0EEEEDaS18_S19_EUlS18_E_NS1_11comp_targetILNS1_3genE10ELNS1_11target_archE1200ELNS1_3gpuE4ELNS1_3repE0EEENS1_30default_config_static_selectorELNS0_4arch9wavefront6targetE1EEEvT1_,"axG",@progbits,_ZN7rocprim17ROCPRIM_400000_NS6detail17trampoline_kernelINS0_14default_configENS1_25partition_config_selectorILNS1_17partition_subalgoE8EN6thrust23THRUST_200600_302600_NS5tupleIffNS7_9null_typeES9_S9_S9_S9_S9_S9_S9_EENS0_10empty_typeEbEEZZNS1_14partition_implILS5_8ELb0ES3_jNS7_6detail15normal_iteratorINS7_10device_ptrISA_EEEEPSB_PKSB_NS0_5tupleIJSI_SB_EEENSM_IJSJ_SJ_EEENS0_18inequality_wrapperINS7_8equal_toISA_EEEEPmJSB_EEE10hipError_tPvRmT3_T4_T5_T6_T7_T9_mT8_P12ihipStream_tbDpT10_ENKUlT_T0_E_clISt17integral_constantIbLb1EES1C_IbLb0EEEEDaS18_S19_EUlS18_E_NS1_11comp_targetILNS1_3genE10ELNS1_11target_archE1200ELNS1_3gpuE4ELNS1_3repE0EEENS1_30default_config_static_selectorELNS0_4arch9wavefront6targetE1EEEvT1_,comdat
	.protected	_ZN7rocprim17ROCPRIM_400000_NS6detail17trampoline_kernelINS0_14default_configENS1_25partition_config_selectorILNS1_17partition_subalgoE8EN6thrust23THRUST_200600_302600_NS5tupleIffNS7_9null_typeES9_S9_S9_S9_S9_S9_S9_EENS0_10empty_typeEbEEZZNS1_14partition_implILS5_8ELb0ES3_jNS7_6detail15normal_iteratorINS7_10device_ptrISA_EEEEPSB_PKSB_NS0_5tupleIJSI_SB_EEENSM_IJSJ_SJ_EEENS0_18inequality_wrapperINS7_8equal_toISA_EEEEPmJSB_EEE10hipError_tPvRmT3_T4_T5_T6_T7_T9_mT8_P12ihipStream_tbDpT10_ENKUlT_T0_E_clISt17integral_constantIbLb1EES1C_IbLb0EEEEDaS18_S19_EUlS18_E_NS1_11comp_targetILNS1_3genE10ELNS1_11target_archE1200ELNS1_3gpuE4ELNS1_3repE0EEENS1_30default_config_static_selectorELNS0_4arch9wavefront6targetE1EEEvT1_ ; -- Begin function _ZN7rocprim17ROCPRIM_400000_NS6detail17trampoline_kernelINS0_14default_configENS1_25partition_config_selectorILNS1_17partition_subalgoE8EN6thrust23THRUST_200600_302600_NS5tupleIffNS7_9null_typeES9_S9_S9_S9_S9_S9_S9_EENS0_10empty_typeEbEEZZNS1_14partition_implILS5_8ELb0ES3_jNS7_6detail15normal_iteratorINS7_10device_ptrISA_EEEEPSB_PKSB_NS0_5tupleIJSI_SB_EEENSM_IJSJ_SJ_EEENS0_18inequality_wrapperINS7_8equal_toISA_EEEEPmJSB_EEE10hipError_tPvRmT3_T4_T5_T6_T7_T9_mT8_P12ihipStream_tbDpT10_ENKUlT_T0_E_clISt17integral_constantIbLb1EES1C_IbLb0EEEEDaS18_S19_EUlS18_E_NS1_11comp_targetILNS1_3genE10ELNS1_11target_archE1200ELNS1_3gpuE4ELNS1_3repE0EEENS1_30default_config_static_selectorELNS0_4arch9wavefront6targetE1EEEvT1_
	.globl	_ZN7rocprim17ROCPRIM_400000_NS6detail17trampoline_kernelINS0_14default_configENS1_25partition_config_selectorILNS1_17partition_subalgoE8EN6thrust23THRUST_200600_302600_NS5tupleIffNS7_9null_typeES9_S9_S9_S9_S9_S9_S9_EENS0_10empty_typeEbEEZZNS1_14partition_implILS5_8ELb0ES3_jNS7_6detail15normal_iteratorINS7_10device_ptrISA_EEEEPSB_PKSB_NS0_5tupleIJSI_SB_EEENSM_IJSJ_SJ_EEENS0_18inequality_wrapperINS7_8equal_toISA_EEEEPmJSB_EEE10hipError_tPvRmT3_T4_T5_T6_T7_T9_mT8_P12ihipStream_tbDpT10_ENKUlT_T0_E_clISt17integral_constantIbLb1EES1C_IbLb0EEEEDaS18_S19_EUlS18_E_NS1_11comp_targetILNS1_3genE10ELNS1_11target_archE1200ELNS1_3gpuE4ELNS1_3repE0EEENS1_30default_config_static_selectorELNS0_4arch9wavefront6targetE1EEEvT1_
	.p2align	8
	.type	_ZN7rocprim17ROCPRIM_400000_NS6detail17trampoline_kernelINS0_14default_configENS1_25partition_config_selectorILNS1_17partition_subalgoE8EN6thrust23THRUST_200600_302600_NS5tupleIffNS7_9null_typeES9_S9_S9_S9_S9_S9_S9_EENS0_10empty_typeEbEEZZNS1_14partition_implILS5_8ELb0ES3_jNS7_6detail15normal_iteratorINS7_10device_ptrISA_EEEEPSB_PKSB_NS0_5tupleIJSI_SB_EEENSM_IJSJ_SJ_EEENS0_18inequality_wrapperINS7_8equal_toISA_EEEEPmJSB_EEE10hipError_tPvRmT3_T4_T5_T6_T7_T9_mT8_P12ihipStream_tbDpT10_ENKUlT_T0_E_clISt17integral_constantIbLb1EES1C_IbLb0EEEEDaS18_S19_EUlS18_E_NS1_11comp_targetILNS1_3genE10ELNS1_11target_archE1200ELNS1_3gpuE4ELNS1_3repE0EEENS1_30default_config_static_selectorELNS0_4arch9wavefront6targetE1EEEvT1_,@function
_ZN7rocprim17ROCPRIM_400000_NS6detail17trampoline_kernelINS0_14default_configENS1_25partition_config_selectorILNS1_17partition_subalgoE8EN6thrust23THRUST_200600_302600_NS5tupleIffNS7_9null_typeES9_S9_S9_S9_S9_S9_S9_EENS0_10empty_typeEbEEZZNS1_14partition_implILS5_8ELb0ES3_jNS7_6detail15normal_iteratorINS7_10device_ptrISA_EEEEPSB_PKSB_NS0_5tupleIJSI_SB_EEENSM_IJSJ_SJ_EEENS0_18inequality_wrapperINS7_8equal_toISA_EEEEPmJSB_EEE10hipError_tPvRmT3_T4_T5_T6_T7_T9_mT8_P12ihipStream_tbDpT10_ENKUlT_T0_E_clISt17integral_constantIbLb1EES1C_IbLb0EEEEDaS18_S19_EUlS18_E_NS1_11comp_targetILNS1_3genE10ELNS1_11target_archE1200ELNS1_3gpuE4ELNS1_3repE0EEENS1_30default_config_static_selectorELNS0_4arch9wavefront6targetE1EEEvT1_: ; @_ZN7rocprim17ROCPRIM_400000_NS6detail17trampoline_kernelINS0_14default_configENS1_25partition_config_selectorILNS1_17partition_subalgoE8EN6thrust23THRUST_200600_302600_NS5tupleIffNS7_9null_typeES9_S9_S9_S9_S9_S9_S9_EENS0_10empty_typeEbEEZZNS1_14partition_implILS5_8ELb0ES3_jNS7_6detail15normal_iteratorINS7_10device_ptrISA_EEEEPSB_PKSB_NS0_5tupleIJSI_SB_EEENSM_IJSJ_SJ_EEENS0_18inequality_wrapperINS7_8equal_toISA_EEEEPmJSB_EEE10hipError_tPvRmT3_T4_T5_T6_T7_T9_mT8_P12ihipStream_tbDpT10_ENKUlT_T0_E_clISt17integral_constantIbLb1EES1C_IbLb0EEEEDaS18_S19_EUlS18_E_NS1_11comp_targetILNS1_3genE10ELNS1_11target_archE1200ELNS1_3gpuE4ELNS1_3repE0EEENS1_30default_config_static_selectorELNS0_4arch9wavefront6targetE1EEEvT1_
; %bb.0:
	.section	.rodata,"a",@progbits
	.p2align	6, 0x0
	.amdhsa_kernel _ZN7rocprim17ROCPRIM_400000_NS6detail17trampoline_kernelINS0_14default_configENS1_25partition_config_selectorILNS1_17partition_subalgoE8EN6thrust23THRUST_200600_302600_NS5tupleIffNS7_9null_typeES9_S9_S9_S9_S9_S9_S9_EENS0_10empty_typeEbEEZZNS1_14partition_implILS5_8ELb0ES3_jNS7_6detail15normal_iteratorINS7_10device_ptrISA_EEEEPSB_PKSB_NS0_5tupleIJSI_SB_EEENSM_IJSJ_SJ_EEENS0_18inequality_wrapperINS7_8equal_toISA_EEEEPmJSB_EEE10hipError_tPvRmT3_T4_T5_T6_T7_T9_mT8_P12ihipStream_tbDpT10_ENKUlT_T0_E_clISt17integral_constantIbLb1EES1C_IbLb0EEEEDaS18_S19_EUlS18_E_NS1_11comp_targetILNS1_3genE10ELNS1_11target_archE1200ELNS1_3gpuE4ELNS1_3repE0EEENS1_30default_config_static_selectorELNS0_4arch9wavefront6targetE1EEEvT1_
		.amdhsa_group_segment_fixed_size 0
		.amdhsa_private_segment_fixed_size 0
		.amdhsa_kernarg_size 112
		.amdhsa_user_sgpr_count 2
		.amdhsa_user_sgpr_dispatch_ptr 0
		.amdhsa_user_sgpr_queue_ptr 0
		.amdhsa_user_sgpr_kernarg_segment_ptr 1
		.amdhsa_user_sgpr_dispatch_id 0
		.amdhsa_user_sgpr_kernarg_preload_length 0
		.amdhsa_user_sgpr_kernarg_preload_offset 0
		.amdhsa_user_sgpr_private_segment_size 0
		.amdhsa_uses_dynamic_stack 0
		.amdhsa_enable_private_segment 0
		.amdhsa_system_sgpr_workgroup_id_x 1
		.amdhsa_system_sgpr_workgroup_id_y 0
		.amdhsa_system_sgpr_workgroup_id_z 0
		.amdhsa_system_sgpr_workgroup_info 0
		.amdhsa_system_vgpr_workitem_id 0
		.amdhsa_next_free_vgpr 1
		.amdhsa_next_free_sgpr 0
		.amdhsa_accum_offset 4
		.amdhsa_reserve_vcc 0
		.amdhsa_float_round_mode_32 0
		.amdhsa_float_round_mode_16_64 0
		.amdhsa_float_denorm_mode_32 3
		.amdhsa_float_denorm_mode_16_64 3
		.amdhsa_dx10_clamp 1
		.amdhsa_ieee_mode 1
		.amdhsa_fp16_overflow 0
		.amdhsa_tg_split 0
		.amdhsa_exception_fp_ieee_invalid_op 0
		.amdhsa_exception_fp_denorm_src 0
		.amdhsa_exception_fp_ieee_div_zero 0
		.amdhsa_exception_fp_ieee_overflow 0
		.amdhsa_exception_fp_ieee_underflow 0
		.amdhsa_exception_fp_ieee_inexact 0
		.amdhsa_exception_int_div_zero 0
	.end_amdhsa_kernel
	.section	.text._ZN7rocprim17ROCPRIM_400000_NS6detail17trampoline_kernelINS0_14default_configENS1_25partition_config_selectorILNS1_17partition_subalgoE8EN6thrust23THRUST_200600_302600_NS5tupleIffNS7_9null_typeES9_S9_S9_S9_S9_S9_S9_EENS0_10empty_typeEbEEZZNS1_14partition_implILS5_8ELb0ES3_jNS7_6detail15normal_iteratorINS7_10device_ptrISA_EEEEPSB_PKSB_NS0_5tupleIJSI_SB_EEENSM_IJSJ_SJ_EEENS0_18inequality_wrapperINS7_8equal_toISA_EEEEPmJSB_EEE10hipError_tPvRmT3_T4_T5_T6_T7_T9_mT8_P12ihipStream_tbDpT10_ENKUlT_T0_E_clISt17integral_constantIbLb1EES1C_IbLb0EEEEDaS18_S19_EUlS18_E_NS1_11comp_targetILNS1_3genE10ELNS1_11target_archE1200ELNS1_3gpuE4ELNS1_3repE0EEENS1_30default_config_static_selectorELNS0_4arch9wavefront6targetE1EEEvT1_,"axG",@progbits,_ZN7rocprim17ROCPRIM_400000_NS6detail17trampoline_kernelINS0_14default_configENS1_25partition_config_selectorILNS1_17partition_subalgoE8EN6thrust23THRUST_200600_302600_NS5tupleIffNS7_9null_typeES9_S9_S9_S9_S9_S9_S9_EENS0_10empty_typeEbEEZZNS1_14partition_implILS5_8ELb0ES3_jNS7_6detail15normal_iteratorINS7_10device_ptrISA_EEEEPSB_PKSB_NS0_5tupleIJSI_SB_EEENSM_IJSJ_SJ_EEENS0_18inequality_wrapperINS7_8equal_toISA_EEEEPmJSB_EEE10hipError_tPvRmT3_T4_T5_T6_T7_T9_mT8_P12ihipStream_tbDpT10_ENKUlT_T0_E_clISt17integral_constantIbLb1EES1C_IbLb0EEEEDaS18_S19_EUlS18_E_NS1_11comp_targetILNS1_3genE10ELNS1_11target_archE1200ELNS1_3gpuE4ELNS1_3repE0EEENS1_30default_config_static_selectorELNS0_4arch9wavefront6targetE1EEEvT1_,comdat
.Lfunc_end125:
	.size	_ZN7rocprim17ROCPRIM_400000_NS6detail17trampoline_kernelINS0_14default_configENS1_25partition_config_selectorILNS1_17partition_subalgoE8EN6thrust23THRUST_200600_302600_NS5tupleIffNS7_9null_typeES9_S9_S9_S9_S9_S9_S9_EENS0_10empty_typeEbEEZZNS1_14partition_implILS5_8ELb0ES3_jNS7_6detail15normal_iteratorINS7_10device_ptrISA_EEEEPSB_PKSB_NS0_5tupleIJSI_SB_EEENSM_IJSJ_SJ_EEENS0_18inequality_wrapperINS7_8equal_toISA_EEEEPmJSB_EEE10hipError_tPvRmT3_T4_T5_T6_T7_T9_mT8_P12ihipStream_tbDpT10_ENKUlT_T0_E_clISt17integral_constantIbLb1EES1C_IbLb0EEEEDaS18_S19_EUlS18_E_NS1_11comp_targetILNS1_3genE10ELNS1_11target_archE1200ELNS1_3gpuE4ELNS1_3repE0EEENS1_30default_config_static_selectorELNS0_4arch9wavefront6targetE1EEEvT1_, .Lfunc_end125-_ZN7rocprim17ROCPRIM_400000_NS6detail17trampoline_kernelINS0_14default_configENS1_25partition_config_selectorILNS1_17partition_subalgoE8EN6thrust23THRUST_200600_302600_NS5tupleIffNS7_9null_typeES9_S9_S9_S9_S9_S9_S9_EENS0_10empty_typeEbEEZZNS1_14partition_implILS5_8ELb0ES3_jNS7_6detail15normal_iteratorINS7_10device_ptrISA_EEEEPSB_PKSB_NS0_5tupleIJSI_SB_EEENSM_IJSJ_SJ_EEENS0_18inequality_wrapperINS7_8equal_toISA_EEEEPmJSB_EEE10hipError_tPvRmT3_T4_T5_T6_T7_T9_mT8_P12ihipStream_tbDpT10_ENKUlT_T0_E_clISt17integral_constantIbLb1EES1C_IbLb0EEEEDaS18_S19_EUlS18_E_NS1_11comp_targetILNS1_3genE10ELNS1_11target_archE1200ELNS1_3gpuE4ELNS1_3repE0EEENS1_30default_config_static_selectorELNS0_4arch9wavefront6targetE1EEEvT1_
                                        ; -- End function
	.section	.AMDGPU.csdata,"",@progbits
; Kernel info:
; codeLenInByte = 0
; NumSgprs: 6
; NumVgprs: 0
; NumAgprs: 0
; TotalNumVgprs: 0
; ScratchSize: 0
; MemoryBound: 0
; FloatMode: 240
; IeeeMode: 1
; LDSByteSize: 0 bytes/workgroup (compile time only)
; SGPRBlocks: 0
; VGPRBlocks: 0
; NumSGPRsForWavesPerEU: 6
; NumVGPRsForWavesPerEU: 1
; AccumOffset: 4
; Occupancy: 8
; WaveLimiterHint : 0
; COMPUTE_PGM_RSRC2:SCRATCH_EN: 0
; COMPUTE_PGM_RSRC2:USER_SGPR: 2
; COMPUTE_PGM_RSRC2:TRAP_HANDLER: 0
; COMPUTE_PGM_RSRC2:TGID_X_EN: 1
; COMPUTE_PGM_RSRC2:TGID_Y_EN: 0
; COMPUTE_PGM_RSRC2:TGID_Z_EN: 0
; COMPUTE_PGM_RSRC2:TIDIG_COMP_CNT: 0
; COMPUTE_PGM_RSRC3_GFX90A:ACCUM_OFFSET: 0
; COMPUTE_PGM_RSRC3_GFX90A:TG_SPLIT: 0
	.section	.text._ZN7rocprim17ROCPRIM_400000_NS6detail17trampoline_kernelINS0_14default_configENS1_25partition_config_selectorILNS1_17partition_subalgoE8EN6thrust23THRUST_200600_302600_NS5tupleIffNS7_9null_typeES9_S9_S9_S9_S9_S9_S9_EENS0_10empty_typeEbEEZZNS1_14partition_implILS5_8ELb0ES3_jNS7_6detail15normal_iteratorINS7_10device_ptrISA_EEEEPSB_PKSB_NS0_5tupleIJSI_SB_EEENSM_IJSJ_SJ_EEENS0_18inequality_wrapperINS7_8equal_toISA_EEEEPmJSB_EEE10hipError_tPvRmT3_T4_T5_T6_T7_T9_mT8_P12ihipStream_tbDpT10_ENKUlT_T0_E_clISt17integral_constantIbLb1EES1C_IbLb0EEEEDaS18_S19_EUlS18_E_NS1_11comp_targetILNS1_3genE9ELNS1_11target_archE1100ELNS1_3gpuE3ELNS1_3repE0EEENS1_30default_config_static_selectorELNS0_4arch9wavefront6targetE1EEEvT1_,"axG",@progbits,_ZN7rocprim17ROCPRIM_400000_NS6detail17trampoline_kernelINS0_14default_configENS1_25partition_config_selectorILNS1_17partition_subalgoE8EN6thrust23THRUST_200600_302600_NS5tupleIffNS7_9null_typeES9_S9_S9_S9_S9_S9_S9_EENS0_10empty_typeEbEEZZNS1_14partition_implILS5_8ELb0ES3_jNS7_6detail15normal_iteratorINS7_10device_ptrISA_EEEEPSB_PKSB_NS0_5tupleIJSI_SB_EEENSM_IJSJ_SJ_EEENS0_18inequality_wrapperINS7_8equal_toISA_EEEEPmJSB_EEE10hipError_tPvRmT3_T4_T5_T6_T7_T9_mT8_P12ihipStream_tbDpT10_ENKUlT_T0_E_clISt17integral_constantIbLb1EES1C_IbLb0EEEEDaS18_S19_EUlS18_E_NS1_11comp_targetILNS1_3genE9ELNS1_11target_archE1100ELNS1_3gpuE3ELNS1_3repE0EEENS1_30default_config_static_selectorELNS0_4arch9wavefront6targetE1EEEvT1_,comdat
	.protected	_ZN7rocprim17ROCPRIM_400000_NS6detail17trampoline_kernelINS0_14default_configENS1_25partition_config_selectorILNS1_17partition_subalgoE8EN6thrust23THRUST_200600_302600_NS5tupleIffNS7_9null_typeES9_S9_S9_S9_S9_S9_S9_EENS0_10empty_typeEbEEZZNS1_14partition_implILS5_8ELb0ES3_jNS7_6detail15normal_iteratorINS7_10device_ptrISA_EEEEPSB_PKSB_NS0_5tupleIJSI_SB_EEENSM_IJSJ_SJ_EEENS0_18inequality_wrapperINS7_8equal_toISA_EEEEPmJSB_EEE10hipError_tPvRmT3_T4_T5_T6_T7_T9_mT8_P12ihipStream_tbDpT10_ENKUlT_T0_E_clISt17integral_constantIbLb1EES1C_IbLb0EEEEDaS18_S19_EUlS18_E_NS1_11comp_targetILNS1_3genE9ELNS1_11target_archE1100ELNS1_3gpuE3ELNS1_3repE0EEENS1_30default_config_static_selectorELNS0_4arch9wavefront6targetE1EEEvT1_ ; -- Begin function _ZN7rocprim17ROCPRIM_400000_NS6detail17trampoline_kernelINS0_14default_configENS1_25partition_config_selectorILNS1_17partition_subalgoE8EN6thrust23THRUST_200600_302600_NS5tupleIffNS7_9null_typeES9_S9_S9_S9_S9_S9_S9_EENS0_10empty_typeEbEEZZNS1_14partition_implILS5_8ELb0ES3_jNS7_6detail15normal_iteratorINS7_10device_ptrISA_EEEEPSB_PKSB_NS0_5tupleIJSI_SB_EEENSM_IJSJ_SJ_EEENS0_18inequality_wrapperINS7_8equal_toISA_EEEEPmJSB_EEE10hipError_tPvRmT3_T4_T5_T6_T7_T9_mT8_P12ihipStream_tbDpT10_ENKUlT_T0_E_clISt17integral_constantIbLb1EES1C_IbLb0EEEEDaS18_S19_EUlS18_E_NS1_11comp_targetILNS1_3genE9ELNS1_11target_archE1100ELNS1_3gpuE3ELNS1_3repE0EEENS1_30default_config_static_selectorELNS0_4arch9wavefront6targetE1EEEvT1_
	.globl	_ZN7rocprim17ROCPRIM_400000_NS6detail17trampoline_kernelINS0_14default_configENS1_25partition_config_selectorILNS1_17partition_subalgoE8EN6thrust23THRUST_200600_302600_NS5tupleIffNS7_9null_typeES9_S9_S9_S9_S9_S9_S9_EENS0_10empty_typeEbEEZZNS1_14partition_implILS5_8ELb0ES3_jNS7_6detail15normal_iteratorINS7_10device_ptrISA_EEEEPSB_PKSB_NS0_5tupleIJSI_SB_EEENSM_IJSJ_SJ_EEENS0_18inequality_wrapperINS7_8equal_toISA_EEEEPmJSB_EEE10hipError_tPvRmT3_T4_T5_T6_T7_T9_mT8_P12ihipStream_tbDpT10_ENKUlT_T0_E_clISt17integral_constantIbLb1EES1C_IbLb0EEEEDaS18_S19_EUlS18_E_NS1_11comp_targetILNS1_3genE9ELNS1_11target_archE1100ELNS1_3gpuE3ELNS1_3repE0EEENS1_30default_config_static_selectorELNS0_4arch9wavefront6targetE1EEEvT1_
	.p2align	8
	.type	_ZN7rocprim17ROCPRIM_400000_NS6detail17trampoline_kernelINS0_14default_configENS1_25partition_config_selectorILNS1_17partition_subalgoE8EN6thrust23THRUST_200600_302600_NS5tupleIffNS7_9null_typeES9_S9_S9_S9_S9_S9_S9_EENS0_10empty_typeEbEEZZNS1_14partition_implILS5_8ELb0ES3_jNS7_6detail15normal_iteratorINS7_10device_ptrISA_EEEEPSB_PKSB_NS0_5tupleIJSI_SB_EEENSM_IJSJ_SJ_EEENS0_18inequality_wrapperINS7_8equal_toISA_EEEEPmJSB_EEE10hipError_tPvRmT3_T4_T5_T6_T7_T9_mT8_P12ihipStream_tbDpT10_ENKUlT_T0_E_clISt17integral_constantIbLb1EES1C_IbLb0EEEEDaS18_S19_EUlS18_E_NS1_11comp_targetILNS1_3genE9ELNS1_11target_archE1100ELNS1_3gpuE3ELNS1_3repE0EEENS1_30default_config_static_selectorELNS0_4arch9wavefront6targetE1EEEvT1_,@function
_ZN7rocprim17ROCPRIM_400000_NS6detail17trampoline_kernelINS0_14default_configENS1_25partition_config_selectorILNS1_17partition_subalgoE8EN6thrust23THRUST_200600_302600_NS5tupleIffNS7_9null_typeES9_S9_S9_S9_S9_S9_S9_EENS0_10empty_typeEbEEZZNS1_14partition_implILS5_8ELb0ES3_jNS7_6detail15normal_iteratorINS7_10device_ptrISA_EEEEPSB_PKSB_NS0_5tupleIJSI_SB_EEENSM_IJSJ_SJ_EEENS0_18inequality_wrapperINS7_8equal_toISA_EEEEPmJSB_EEE10hipError_tPvRmT3_T4_T5_T6_T7_T9_mT8_P12ihipStream_tbDpT10_ENKUlT_T0_E_clISt17integral_constantIbLb1EES1C_IbLb0EEEEDaS18_S19_EUlS18_E_NS1_11comp_targetILNS1_3genE9ELNS1_11target_archE1100ELNS1_3gpuE3ELNS1_3repE0EEENS1_30default_config_static_selectorELNS0_4arch9wavefront6targetE1EEEvT1_: ; @_ZN7rocprim17ROCPRIM_400000_NS6detail17trampoline_kernelINS0_14default_configENS1_25partition_config_selectorILNS1_17partition_subalgoE8EN6thrust23THRUST_200600_302600_NS5tupleIffNS7_9null_typeES9_S9_S9_S9_S9_S9_S9_EENS0_10empty_typeEbEEZZNS1_14partition_implILS5_8ELb0ES3_jNS7_6detail15normal_iteratorINS7_10device_ptrISA_EEEEPSB_PKSB_NS0_5tupleIJSI_SB_EEENSM_IJSJ_SJ_EEENS0_18inequality_wrapperINS7_8equal_toISA_EEEEPmJSB_EEE10hipError_tPvRmT3_T4_T5_T6_T7_T9_mT8_P12ihipStream_tbDpT10_ENKUlT_T0_E_clISt17integral_constantIbLb1EES1C_IbLb0EEEEDaS18_S19_EUlS18_E_NS1_11comp_targetILNS1_3genE9ELNS1_11target_archE1100ELNS1_3gpuE3ELNS1_3repE0EEENS1_30default_config_static_selectorELNS0_4arch9wavefront6targetE1EEEvT1_
; %bb.0:
	.section	.rodata,"a",@progbits
	.p2align	6, 0x0
	.amdhsa_kernel _ZN7rocprim17ROCPRIM_400000_NS6detail17trampoline_kernelINS0_14default_configENS1_25partition_config_selectorILNS1_17partition_subalgoE8EN6thrust23THRUST_200600_302600_NS5tupleIffNS7_9null_typeES9_S9_S9_S9_S9_S9_S9_EENS0_10empty_typeEbEEZZNS1_14partition_implILS5_8ELb0ES3_jNS7_6detail15normal_iteratorINS7_10device_ptrISA_EEEEPSB_PKSB_NS0_5tupleIJSI_SB_EEENSM_IJSJ_SJ_EEENS0_18inequality_wrapperINS7_8equal_toISA_EEEEPmJSB_EEE10hipError_tPvRmT3_T4_T5_T6_T7_T9_mT8_P12ihipStream_tbDpT10_ENKUlT_T0_E_clISt17integral_constantIbLb1EES1C_IbLb0EEEEDaS18_S19_EUlS18_E_NS1_11comp_targetILNS1_3genE9ELNS1_11target_archE1100ELNS1_3gpuE3ELNS1_3repE0EEENS1_30default_config_static_selectorELNS0_4arch9wavefront6targetE1EEEvT1_
		.amdhsa_group_segment_fixed_size 0
		.amdhsa_private_segment_fixed_size 0
		.amdhsa_kernarg_size 112
		.amdhsa_user_sgpr_count 2
		.amdhsa_user_sgpr_dispatch_ptr 0
		.amdhsa_user_sgpr_queue_ptr 0
		.amdhsa_user_sgpr_kernarg_segment_ptr 1
		.amdhsa_user_sgpr_dispatch_id 0
		.amdhsa_user_sgpr_kernarg_preload_length 0
		.amdhsa_user_sgpr_kernarg_preload_offset 0
		.amdhsa_user_sgpr_private_segment_size 0
		.amdhsa_uses_dynamic_stack 0
		.amdhsa_enable_private_segment 0
		.amdhsa_system_sgpr_workgroup_id_x 1
		.amdhsa_system_sgpr_workgroup_id_y 0
		.amdhsa_system_sgpr_workgroup_id_z 0
		.amdhsa_system_sgpr_workgroup_info 0
		.amdhsa_system_vgpr_workitem_id 0
		.amdhsa_next_free_vgpr 1
		.amdhsa_next_free_sgpr 0
		.amdhsa_accum_offset 4
		.amdhsa_reserve_vcc 0
		.amdhsa_float_round_mode_32 0
		.amdhsa_float_round_mode_16_64 0
		.amdhsa_float_denorm_mode_32 3
		.amdhsa_float_denorm_mode_16_64 3
		.amdhsa_dx10_clamp 1
		.amdhsa_ieee_mode 1
		.amdhsa_fp16_overflow 0
		.amdhsa_tg_split 0
		.amdhsa_exception_fp_ieee_invalid_op 0
		.amdhsa_exception_fp_denorm_src 0
		.amdhsa_exception_fp_ieee_div_zero 0
		.amdhsa_exception_fp_ieee_overflow 0
		.amdhsa_exception_fp_ieee_underflow 0
		.amdhsa_exception_fp_ieee_inexact 0
		.amdhsa_exception_int_div_zero 0
	.end_amdhsa_kernel
	.section	.text._ZN7rocprim17ROCPRIM_400000_NS6detail17trampoline_kernelINS0_14default_configENS1_25partition_config_selectorILNS1_17partition_subalgoE8EN6thrust23THRUST_200600_302600_NS5tupleIffNS7_9null_typeES9_S9_S9_S9_S9_S9_S9_EENS0_10empty_typeEbEEZZNS1_14partition_implILS5_8ELb0ES3_jNS7_6detail15normal_iteratorINS7_10device_ptrISA_EEEEPSB_PKSB_NS0_5tupleIJSI_SB_EEENSM_IJSJ_SJ_EEENS0_18inequality_wrapperINS7_8equal_toISA_EEEEPmJSB_EEE10hipError_tPvRmT3_T4_T5_T6_T7_T9_mT8_P12ihipStream_tbDpT10_ENKUlT_T0_E_clISt17integral_constantIbLb1EES1C_IbLb0EEEEDaS18_S19_EUlS18_E_NS1_11comp_targetILNS1_3genE9ELNS1_11target_archE1100ELNS1_3gpuE3ELNS1_3repE0EEENS1_30default_config_static_selectorELNS0_4arch9wavefront6targetE1EEEvT1_,"axG",@progbits,_ZN7rocprim17ROCPRIM_400000_NS6detail17trampoline_kernelINS0_14default_configENS1_25partition_config_selectorILNS1_17partition_subalgoE8EN6thrust23THRUST_200600_302600_NS5tupleIffNS7_9null_typeES9_S9_S9_S9_S9_S9_S9_EENS0_10empty_typeEbEEZZNS1_14partition_implILS5_8ELb0ES3_jNS7_6detail15normal_iteratorINS7_10device_ptrISA_EEEEPSB_PKSB_NS0_5tupleIJSI_SB_EEENSM_IJSJ_SJ_EEENS0_18inequality_wrapperINS7_8equal_toISA_EEEEPmJSB_EEE10hipError_tPvRmT3_T4_T5_T6_T7_T9_mT8_P12ihipStream_tbDpT10_ENKUlT_T0_E_clISt17integral_constantIbLb1EES1C_IbLb0EEEEDaS18_S19_EUlS18_E_NS1_11comp_targetILNS1_3genE9ELNS1_11target_archE1100ELNS1_3gpuE3ELNS1_3repE0EEENS1_30default_config_static_selectorELNS0_4arch9wavefront6targetE1EEEvT1_,comdat
.Lfunc_end126:
	.size	_ZN7rocprim17ROCPRIM_400000_NS6detail17trampoline_kernelINS0_14default_configENS1_25partition_config_selectorILNS1_17partition_subalgoE8EN6thrust23THRUST_200600_302600_NS5tupleIffNS7_9null_typeES9_S9_S9_S9_S9_S9_S9_EENS0_10empty_typeEbEEZZNS1_14partition_implILS5_8ELb0ES3_jNS7_6detail15normal_iteratorINS7_10device_ptrISA_EEEEPSB_PKSB_NS0_5tupleIJSI_SB_EEENSM_IJSJ_SJ_EEENS0_18inequality_wrapperINS7_8equal_toISA_EEEEPmJSB_EEE10hipError_tPvRmT3_T4_T5_T6_T7_T9_mT8_P12ihipStream_tbDpT10_ENKUlT_T0_E_clISt17integral_constantIbLb1EES1C_IbLb0EEEEDaS18_S19_EUlS18_E_NS1_11comp_targetILNS1_3genE9ELNS1_11target_archE1100ELNS1_3gpuE3ELNS1_3repE0EEENS1_30default_config_static_selectorELNS0_4arch9wavefront6targetE1EEEvT1_, .Lfunc_end126-_ZN7rocprim17ROCPRIM_400000_NS6detail17trampoline_kernelINS0_14default_configENS1_25partition_config_selectorILNS1_17partition_subalgoE8EN6thrust23THRUST_200600_302600_NS5tupleIffNS7_9null_typeES9_S9_S9_S9_S9_S9_S9_EENS0_10empty_typeEbEEZZNS1_14partition_implILS5_8ELb0ES3_jNS7_6detail15normal_iteratorINS7_10device_ptrISA_EEEEPSB_PKSB_NS0_5tupleIJSI_SB_EEENSM_IJSJ_SJ_EEENS0_18inequality_wrapperINS7_8equal_toISA_EEEEPmJSB_EEE10hipError_tPvRmT3_T4_T5_T6_T7_T9_mT8_P12ihipStream_tbDpT10_ENKUlT_T0_E_clISt17integral_constantIbLb1EES1C_IbLb0EEEEDaS18_S19_EUlS18_E_NS1_11comp_targetILNS1_3genE9ELNS1_11target_archE1100ELNS1_3gpuE3ELNS1_3repE0EEENS1_30default_config_static_selectorELNS0_4arch9wavefront6targetE1EEEvT1_
                                        ; -- End function
	.section	.AMDGPU.csdata,"",@progbits
; Kernel info:
; codeLenInByte = 0
; NumSgprs: 6
; NumVgprs: 0
; NumAgprs: 0
; TotalNumVgprs: 0
; ScratchSize: 0
; MemoryBound: 0
; FloatMode: 240
; IeeeMode: 1
; LDSByteSize: 0 bytes/workgroup (compile time only)
; SGPRBlocks: 0
; VGPRBlocks: 0
; NumSGPRsForWavesPerEU: 6
; NumVGPRsForWavesPerEU: 1
; AccumOffset: 4
; Occupancy: 8
; WaveLimiterHint : 0
; COMPUTE_PGM_RSRC2:SCRATCH_EN: 0
; COMPUTE_PGM_RSRC2:USER_SGPR: 2
; COMPUTE_PGM_RSRC2:TRAP_HANDLER: 0
; COMPUTE_PGM_RSRC2:TGID_X_EN: 1
; COMPUTE_PGM_RSRC2:TGID_Y_EN: 0
; COMPUTE_PGM_RSRC2:TGID_Z_EN: 0
; COMPUTE_PGM_RSRC2:TIDIG_COMP_CNT: 0
; COMPUTE_PGM_RSRC3_GFX90A:ACCUM_OFFSET: 0
; COMPUTE_PGM_RSRC3_GFX90A:TG_SPLIT: 0
	.section	.text._ZN7rocprim17ROCPRIM_400000_NS6detail17trampoline_kernelINS0_14default_configENS1_25partition_config_selectorILNS1_17partition_subalgoE8EN6thrust23THRUST_200600_302600_NS5tupleIffNS7_9null_typeES9_S9_S9_S9_S9_S9_S9_EENS0_10empty_typeEbEEZZNS1_14partition_implILS5_8ELb0ES3_jNS7_6detail15normal_iteratorINS7_10device_ptrISA_EEEEPSB_PKSB_NS0_5tupleIJSI_SB_EEENSM_IJSJ_SJ_EEENS0_18inequality_wrapperINS7_8equal_toISA_EEEEPmJSB_EEE10hipError_tPvRmT3_T4_T5_T6_T7_T9_mT8_P12ihipStream_tbDpT10_ENKUlT_T0_E_clISt17integral_constantIbLb1EES1C_IbLb0EEEEDaS18_S19_EUlS18_E_NS1_11comp_targetILNS1_3genE8ELNS1_11target_archE1030ELNS1_3gpuE2ELNS1_3repE0EEENS1_30default_config_static_selectorELNS0_4arch9wavefront6targetE1EEEvT1_,"axG",@progbits,_ZN7rocprim17ROCPRIM_400000_NS6detail17trampoline_kernelINS0_14default_configENS1_25partition_config_selectorILNS1_17partition_subalgoE8EN6thrust23THRUST_200600_302600_NS5tupleIffNS7_9null_typeES9_S9_S9_S9_S9_S9_S9_EENS0_10empty_typeEbEEZZNS1_14partition_implILS5_8ELb0ES3_jNS7_6detail15normal_iteratorINS7_10device_ptrISA_EEEEPSB_PKSB_NS0_5tupleIJSI_SB_EEENSM_IJSJ_SJ_EEENS0_18inequality_wrapperINS7_8equal_toISA_EEEEPmJSB_EEE10hipError_tPvRmT3_T4_T5_T6_T7_T9_mT8_P12ihipStream_tbDpT10_ENKUlT_T0_E_clISt17integral_constantIbLb1EES1C_IbLb0EEEEDaS18_S19_EUlS18_E_NS1_11comp_targetILNS1_3genE8ELNS1_11target_archE1030ELNS1_3gpuE2ELNS1_3repE0EEENS1_30default_config_static_selectorELNS0_4arch9wavefront6targetE1EEEvT1_,comdat
	.protected	_ZN7rocprim17ROCPRIM_400000_NS6detail17trampoline_kernelINS0_14default_configENS1_25partition_config_selectorILNS1_17partition_subalgoE8EN6thrust23THRUST_200600_302600_NS5tupleIffNS7_9null_typeES9_S9_S9_S9_S9_S9_S9_EENS0_10empty_typeEbEEZZNS1_14partition_implILS5_8ELb0ES3_jNS7_6detail15normal_iteratorINS7_10device_ptrISA_EEEEPSB_PKSB_NS0_5tupleIJSI_SB_EEENSM_IJSJ_SJ_EEENS0_18inequality_wrapperINS7_8equal_toISA_EEEEPmJSB_EEE10hipError_tPvRmT3_T4_T5_T6_T7_T9_mT8_P12ihipStream_tbDpT10_ENKUlT_T0_E_clISt17integral_constantIbLb1EES1C_IbLb0EEEEDaS18_S19_EUlS18_E_NS1_11comp_targetILNS1_3genE8ELNS1_11target_archE1030ELNS1_3gpuE2ELNS1_3repE0EEENS1_30default_config_static_selectorELNS0_4arch9wavefront6targetE1EEEvT1_ ; -- Begin function _ZN7rocprim17ROCPRIM_400000_NS6detail17trampoline_kernelINS0_14default_configENS1_25partition_config_selectorILNS1_17partition_subalgoE8EN6thrust23THRUST_200600_302600_NS5tupleIffNS7_9null_typeES9_S9_S9_S9_S9_S9_S9_EENS0_10empty_typeEbEEZZNS1_14partition_implILS5_8ELb0ES3_jNS7_6detail15normal_iteratorINS7_10device_ptrISA_EEEEPSB_PKSB_NS0_5tupleIJSI_SB_EEENSM_IJSJ_SJ_EEENS0_18inequality_wrapperINS7_8equal_toISA_EEEEPmJSB_EEE10hipError_tPvRmT3_T4_T5_T6_T7_T9_mT8_P12ihipStream_tbDpT10_ENKUlT_T0_E_clISt17integral_constantIbLb1EES1C_IbLb0EEEEDaS18_S19_EUlS18_E_NS1_11comp_targetILNS1_3genE8ELNS1_11target_archE1030ELNS1_3gpuE2ELNS1_3repE0EEENS1_30default_config_static_selectorELNS0_4arch9wavefront6targetE1EEEvT1_
	.globl	_ZN7rocprim17ROCPRIM_400000_NS6detail17trampoline_kernelINS0_14default_configENS1_25partition_config_selectorILNS1_17partition_subalgoE8EN6thrust23THRUST_200600_302600_NS5tupleIffNS7_9null_typeES9_S9_S9_S9_S9_S9_S9_EENS0_10empty_typeEbEEZZNS1_14partition_implILS5_8ELb0ES3_jNS7_6detail15normal_iteratorINS7_10device_ptrISA_EEEEPSB_PKSB_NS0_5tupleIJSI_SB_EEENSM_IJSJ_SJ_EEENS0_18inequality_wrapperINS7_8equal_toISA_EEEEPmJSB_EEE10hipError_tPvRmT3_T4_T5_T6_T7_T9_mT8_P12ihipStream_tbDpT10_ENKUlT_T0_E_clISt17integral_constantIbLb1EES1C_IbLb0EEEEDaS18_S19_EUlS18_E_NS1_11comp_targetILNS1_3genE8ELNS1_11target_archE1030ELNS1_3gpuE2ELNS1_3repE0EEENS1_30default_config_static_selectorELNS0_4arch9wavefront6targetE1EEEvT1_
	.p2align	8
	.type	_ZN7rocprim17ROCPRIM_400000_NS6detail17trampoline_kernelINS0_14default_configENS1_25partition_config_selectorILNS1_17partition_subalgoE8EN6thrust23THRUST_200600_302600_NS5tupleIffNS7_9null_typeES9_S9_S9_S9_S9_S9_S9_EENS0_10empty_typeEbEEZZNS1_14partition_implILS5_8ELb0ES3_jNS7_6detail15normal_iteratorINS7_10device_ptrISA_EEEEPSB_PKSB_NS0_5tupleIJSI_SB_EEENSM_IJSJ_SJ_EEENS0_18inequality_wrapperINS7_8equal_toISA_EEEEPmJSB_EEE10hipError_tPvRmT3_T4_T5_T6_T7_T9_mT8_P12ihipStream_tbDpT10_ENKUlT_T0_E_clISt17integral_constantIbLb1EES1C_IbLb0EEEEDaS18_S19_EUlS18_E_NS1_11comp_targetILNS1_3genE8ELNS1_11target_archE1030ELNS1_3gpuE2ELNS1_3repE0EEENS1_30default_config_static_selectorELNS0_4arch9wavefront6targetE1EEEvT1_,@function
_ZN7rocprim17ROCPRIM_400000_NS6detail17trampoline_kernelINS0_14default_configENS1_25partition_config_selectorILNS1_17partition_subalgoE8EN6thrust23THRUST_200600_302600_NS5tupleIffNS7_9null_typeES9_S9_S9_S9_S9_S9_S9_EENS0_10empty_typeEbEEZZNS1_14partition_implILS5_8ELb0ES3_jNS7_6detail15normal_iteratorINS7_10device_ptrISA_EEEEPSB_PKSB_NS0_5tupleIJSI_SB_EEENSM_IJSJ_SJ_EEENS0_18inequality_wrapperINS7_8equal_toISA_EEEEPmJSB_EEE10hipError_tPvRmT3_T4_T5_T6_T7_T9_mT8_P12ihipStream_tbDpT10_ENKUlT_T0_E_clISt17integral_constantIbLb1EES1C_IbLb0EEEEDaS18_S19_EUlS18_E_NS1_11comp_targetILNS1_3genE8ELNS1_11target_archE1030ELNS1_3gpuE2ELNS1_3repE0EEENS1_30default_config_static_selectorELNS0_4arch9wavefront6targetE1EEEvT1_: ; @_ZN7rocprim17ROCPRIM_400000_NS6detail17trampoline_kernelINS0_14default_configENS1_25partition_config_selectorILNS1_17partition_subalgoE8EN6thrust23THRUST_200600_302600_NS5tupleIffNS7_9null_typeES9_S9_S9_S9_S9_S9_S9_EENS0_10empty_typeEbEEZZNS1_14partition_implILS5_8ELb0ES3_jNS7_6detail15normal_iteratorINS7_10device_ptrISA_EEEEPSB_PKSB_NS0_5tupleIJSI_SB_EEENSM_IJSJ_SJ_EEENS0_18inequality_wrapperINS7_8equal_toISA_EEEEPmJSB_EEE10hipError_tPvRmT3_T4_T5_T6_T7_T9_mT8_P12ihipStream_tbDpT10_ENKUlT_T0_E_clISt17integral_constantIbLb1EES1C_IbLb0EEEEDaS18_S19_EUlS18_E_NS1_11comp_targetILNS1_3genE8ELNS1_11target_archE1030ELNS1_3gpuE2ELNS1_3repE0EEENS1_30default_config_static_selectorELNS0_4arch9wavefront6targetE1EEEvT1_
; %bb.0:
	.section	.rodata,"a",@progbits
	.p2align	6, 0x0
	.amdhsa_kernel _ZN7rocprim17ROCPRIM_400000_NS6detail17trampoline_kernelINS0_14default_configENS1_25partition_config_selectorILNS1_17partition_subalgoE8EN6thrust23THRUST_200600_302600_NS5tupleIffNS7_9null_typeES9_S9_S9_S9_S9_S9_S9_EENS0_10empty_typeEbEEZZNS1_14partition_implILS5_8ELb0ES3_jNS7_6detail15normal_iteratorINS7_10device_ptrISA_EEEEPSB_PKSB_NS0_5tupleIJSI_SB_EEENSM_IJSJ_SJ_EEENS0_18inequality_wrapperINS7_8equal_toISA_EEEEPmJSB_EEE10hipError_tPvRmT3_T4_T5_T6_T7_T9_mT8_P12ihipStream_tbDpT10_ENKUlT_T0_E_clISt17integral_constantIbLb1EES1C_IbLb0EEEEDaS18_S19_EUlS18_E_NS1_11comp_targetILNS1_3genE8ELNS1_11target_archE1030ELNS1_3gpuE2ELNS1_3repE0EEENS1_30default_config_static_selectorELNS0_4arch9wavefront6targetE1EEEvT1_
		.amdhsa_group_segment_fixed_size 0
		.amdhsa_private_segment_fixed_size 0
		.amdhsa_kernarg_size 112
		.amdhsa_user_sgpr_count 2
		.amdhsa_user_sgpr_dispatch_ptr 0
		.amdhsa_user_sgpr_queue_ptr 0
		.amdhsa_user_sgpr_kernarg_segment_ptr 1
		.amdhsa_user_sgpr_dispatch_id 0
		.amdhsa_user_sgpr_kernarg_preload_length 0
		.amdhsa_user_sgpr_kernarg_preload_offset 0
		.amdhsa_user_sgpr_private_segment_size 0
		.amdhsa_uses_dynamic_stack 0
		.amdhsa_enable_private_segment 0
		.amdhsa_system_sgpr_workgroup_id_x 1
		.amdhsa_system_sgpr_workgroup_id_y 0
		.amdhsa_system_sgpr_workgroup_id_z 0
		.amdhsa_system_sgpr_workgroup_info 0
		.amdhsa_system_vgpr_workitem_id 0
		.amdhsa_next_free_vgpr 1
		.amdhsa_next_free_sgpr 0
		.amdhsa_accum_offset 4
		.amdhsa_reserve_vcc 0
		.amdhsa_float_round_mode_32 0
		.amdhsa_float_round_mode_16_64 0
		.amdhsa_float_denorm_mode_32 3
		.amdhsa_float_denorm_mode_16_64 3
		.amdhsa_dx10_clamp 1
		.amdhsa_ieee_mode 1
		.amdhsa_fp16_overflow 0
		.amdhsa_tg_split 0
		.amdhsa_exception_fp_ieee_invalid_op 0
		.amdhsa_exception_fp_denorm_src 0
		.amdhsa_exception_fp_ieee_div_zero 0
		.amdhsa_exception_fp_ieee_overflow 0
		.amdhsa_exception_fp_ieee_underflow 0
		.amdhsa_exception_fp_ieee_inexact 0
		.amdhsa_exception_int_div_zero 0
	.end_amdhsa_kernel
	.section	.text._ZN7rocprim17ROCPRIM_400000_NS6detail17trampoline_kernelINS0_14default_configENS1_25partition_config_selectorILNS1_17partition_subalgoE8EN6thrust23THRUST_200600_302600_NS5tupleIffNS7_9null_typeES9_S9_S9_S9_S9_S9_S9_EENS0_10empty_typeEbEEZZNS1_14partition_implILS5_8ELb0ES3_jNS7_6detail15normal_iteratorINS7_10device_ptrISA_EEEEPSB_PKSB_NS0_5tupleIJSI_SB_EEENSM_IJSJ_SJ_EEENS0_18inequality_wrapperINS7_8equal_toISA_EEEEPmJSB_EEE10hipError_tPvRmT3_T4_T5_T6_T7_T9_mT8_P12ihipStream_tbDpT10_ENKUlT_T0_E_clISt17integral_constantIbLb1EES1C_IbLb0EEEEDaS18_S19_EUlS18_E_NS1_11comp_targetILNS1_3genE8ELNS1_11target_archE1030ELNS1_3gpuE2ELNS1_3repE0EEENS1_30default_config_static_selectorELNS0_4arch9wavefront6targetE1EEEvT1_,"axG",@progbits,_ZN7rocprim17ROCPRIM_400000_NS6detail17trampoline_kernelINS0_14default_configENS1_25partition_config_selectorILNS1_17partition_subalgoE8EN6thrust23THRUST_200600_302600_NS5tupleIffNS7_9null_typeES9_S9_S9_S9_S9_S9_S9_EENS0_10empty_typeEbEEZZNS1_14partition_implILS5_8ELb0ES3_jNS7_6detail15normal_iteratorINS7_10device_ptrISA_EEEEPSB_PKSB_NS0_5tupleIJSI_SB_EEENSM_IJSJ_SJ_EEENS0_18inequality_wrapperINS7_8equal_toISA_EEEEPmJSB_EEE10hipError_tPvRmT3_T4_T5_T6_T7_T9_mT8_P12ihipStream_tbDpT10_ENKUlT_T0_E_clISt17integral_constantIbLb1EES1C_IbLb0EEEEDaS18_S19_EUlS18_E_NS1_11comp_targetILNS1_3genE8ELNS1_11target_archE1030ELNS1_3gpuE2ELNS1_3repE0EEENS1_30default_config_static_selectorELNS0_4arch9wavefront6targetE1EEEvT1_,comdat
.Lfunc_end127:
	.size	_ZN7rocprim17ROCPRIM_400000_NS6detail17trampoline_kernelINS0_14default_configENS1_25partition_config_selectorILNS1_17partition_subalgoE8EN6thrust23THRUST_200600_302600_NS5tupleIffNS7_9null_typeES9_S9_S9_S9_S9_S9_S9_EENS0_10empty_typeEbEEZZNS1_14partition_implILS5_8ELb0ES3_jNS7_6detail15normal_iteratorINS7_10device_ptrISA_EEEEPSB_PKSB_NS0_5tupleIJSI_SB_EEENSM_IJSJ_SJ_EEENS0_18inequality_wrapperINS7_8equal_toISA_EEEEPmJSB_EEE10hipError_tPvRmT3_T4_T5_T6_T7_T9_mT8_P12ihipStream_tbDpT10_ENKUlT_T0_E_clISt17integral_constantIbLb1EES1C_IbLb0EEEEDaS18_S19_EUlS18_E_NS1_11comp_targetILNS1_3genE8ELNS1_11target_archE1030ELNS1_3gpuE2ELNS1_3repE0EEENS1_30default_config_static_selectorELNS0_4arch9wavefront6targetE1EEEvT1_, .Lfunc_end127-_ZN7rocprim17ROCPRIM_400000_NS6detail17trampoline_kernelINS0_14default_configENS1_25partition_config_selectorILNS1_17partition_subalgoE8EN6thrust23THRUST_200600_302600_NS5tupleIffNS7_9null_typeES9_S9_S9_S9_S9_S9_S9_EENS0_10empty_typeEbEEZZNS1_14partition_implILS5_8ELb0ES3_jNS7_6detail15normal_iteratorINS7_10device_ptrISA_EEEEPSB_PKSB_NS0_5tupleIJSI_SB_EEENSM_IJSJ_SJ_EEENS0_18inequality_wrapperINS7_8equal_toISA_EEEEPmJSB_EEE10hipError_tPvRmT3_T4_T5_T6_T7_T9_mT8_P12ihipStream_tbDpT10_ENKUlT_T0_E_clISt17integral_constantIbLb1EES1C_IbLb0EEEEDaS18_S19_EUlS18_E_NS1_11comp_targetILNS1_3genE8ELNS1_11target_archE1030ELNS1_3gpuE2ELNS1_3repE0EEENS1_30default_config_static_selectorELNS0_4arch9wavefront6targetE1EEEvT1_
                                        ; -- End function
	.section	.AMDGPU.csdata,"",@progbits
; Kernel info:
; codeLenInByte = 0
; NumSgprs: 6
; NumVgprs: 0
; NumAgprs: 0
; TotalNumVgprs: 0
; ScratchSize: 0
; MemoryBound: 0
; FloatMode: 240
; IeeeMode: 1
; LDSByteSize: 0 bytes/workgroup (compile time only)
; SGPRBlocks: 0
; VGPRBlocks: 0
; NumSGPRsForWavesPerEU: 6
; NumVGPRsForWavesPerEU: 1
; AccumOffset: 4
; Occupancy: 8
; WaveLimiterHint : 0
; COMPUTE_PGM_RSRC2:SCRATCH_EN: 0
; COMPUTE_PGM_RSRC2:USER_SGPR: 2
; COMPUTE_PGM_RSRC2:TRAP_HANDLER: 0
; COMPUTE_PGM_RSRC2:TGID_X_EN: 1
; COMPUTE_PGM_RSRC2:TGID_Y_EN: 0
; COMPUTE_PGM_RSRC2:TGID_Z_EN: 0
; COMPUTE_PGM_RSRC2:TIDIG_COMP_CNT: 0
; COMPUTE_PGM_RSRC3_GFX90A:ACCUM_OFFSET: 0
; COMPUTE_PGM_RSRC3_GFX90A:TG_SPLIT: 0
	.section	.text._ZN7rocprim17ROCPRIM_400000_NS6detail31init_lookback_scan_state_kernelINS1_19lookback_scan_stateIjLb0ELb1EEENS1_16block_id_wrapperIjLb1EEEEEvT_jT0_jPNS7_10value_typeE,"axG",@progbits,_ZN7rocprim17ROCPRIM_400000_NS6detail31init_lookback_scan_state_kernelINS1_19lookback_scan_stateIjLb0ELb1EEENS1_16block_id_wrapperIjLb1EEEEEvT_jT0_jPNS7_10value_typeE,comdat
	.protected	_ZN7rocprim17ROCPRIM_400000_NS6detail31init_lookback_scan_state_kernelINS1_19lookback_scan_stateIjLb0ELb1EEENS1_16block_id_wrapperIjLb1EEEEEvT_jT0_jPNS7_10value_typeE ; -- Begin function _ZN7rocprim17ROCPRIM_400000_NS6detail31init_lookback_scan_state_kernelINS1_19lookback_scan_stateIjLb0ELb1EEENS1_16block_id_wrapperIjLb1EEEEEvT_jT0_jPNS7_10value_typeE
	.globl	_ZN7rocprim17ROCPRIM_400000_NS6detail31init_lookback_scan_state_kernelINS1_19lookback_scan_stateIjLb0ELb1EEENS1_16block_id_wrapperIjLb1EEEEEvT_jT0_jPNS7_10value_typeE
	.p2align	8
	.type	_ZN7rocprim17ROCPRIM_400000_NS6detail31init_lookback_scan_state_kernelINS1_19lookback_scan_stateIjLb0ELb1EEENS1_16block_id_wrapperIjLb1EEEEEvT_jT0_jPNS7_10value_typeE,@function
_ZN7rocprim17ROCPRIM_400000_NS6detail31init_lookback_scan_state_kernelINS1_19lookback_scan_stateIjLb0ELb1EEENS1_16block_id_wrapperIjLb1EEEEEvT_jT0_jPNS7_10value_typeE: ; @_ZN7rocprim17ROCPRIM_400000_NS6detail31init_lookback_scan_state_kernelINS1_19lookback_scan_stateIjLb0ELb1EEENS1_16block_id_wrapperIjLb1EEEEEvT_jT0_jPNS7_10value_typeE
; %bb.0:
	s_load_dword s3, s[0:1], 0x34
	s_load_dwordx2 s[6:7], s[0:1], 0x20
	s_load_dwordx2 s[4:5], s[0:1], 0x0
	s_load_dword s10, s[0:1], 0x8
	s_waitcnt lgkmcnt(0)
	s_and_b32 s3, s3, 0xffff
	s_mul_i32 s2, s2, s3
	s_cmp_eq_u64 s[6:7], 0
	v_add_u32_e32 v0, s2, v0
	s_cbranch_scc1 .LBB128_6
; %bb.1:
	s_load_dword s8, s[0:1], 0x18
	s_mov_b32 s9, 0
	s_waitcnt lgkmcnt(0)
	s_cmp_lt_u32 s8, s10
	s_cselect_b32 s2, s8, 0
	v_cmp_eq_u32_e32 vcc, s2, v0
	s_and_saveexec_b64 s[2:3], vcc
	s_cbranch_execz .LBB128_5
; %bb.2:
	s_add_i32 s8, s8, 64
	s_lshl_b64 s[8:9], s[8:9], 3
	s_add_u32 s8, s4, s8
	s_addc_u32 s9, s5, s9
	v_mov_b32_e32 v4, 0
	global_load_dwordx2 v[2:3], v4, s[8:9] sc1
	s_waitcnt vmcnt(0)
	v_and_b32_e32 v5, 0xff, v3
	v_cmp_ne_u64_e32 vcc, 0, v[4:5]
	s_cbranch_vccnz .LBB128_4
.LBB128_3:                              ; =>This Inner Loop Header: Depth=1
	global_load_dwordx2 v[2:3], v4, s[8:9] sc1
	s_waitcnt vmcnt(0)
	v_and_b32_e32 v5, 0xff, v3
	v_cmp_eq_u64_e32 vcc, 0, v[4:5]
	s_cbranch_vccnz .LBB128_3
.LBB128_4:
	v_mov_b32_e32 v1, 0
	global_store_dword v1, v2, s[6:7]
.LBB128_5:
	s_or_b64 exec, exec, s[2:3]
.LBB128_6:
	v_cmp_eq_u32_e32 vcc, 0, v0
	s_and_saveexec_b64 s[2:3], vcc
	s_cbranch_execnz .LBB128_10
; %bb.7:
	s_or_b64 exec, exec, s[2:3]
	v_cmp_gt_u32_e32 vcc, s10, v0
	s_and_saveexec_b64 s[0:1], vcc
	s_cbranch_execnz .LBB128_11
.LBB128_8:
	s_or_b64 exec, exec, s[0:1]
	v_cmp_gt_u32_e32 vcc, 64, v0
	s_and_saveexec_b64 s[0:1], vcc
	s_cbranch_execnz .LBB128_12
.LBB128_9:
	s_endpgm
.LBB128_10:
	s_load_dwordx2 s[0:1], s[0:1], 0x10
	v_mov_b32_e32 v1, 0
	s_waitcnt lgkmcnt(0)
	global_store_dword v1, v1, s[0:1]
	s_or_b64 exec, exec, s[2:3]
	v_cmp_gt_u32_e32 vcc, s10, v0
	s_and_saveexec_b64 s[0:1], vcc
	s_cbranch_execz .LBB128_8
.LBB128_11:
	v_add_u32_e32 v2, 64, v0
	v_mov_b32_e32 v3, 0
	v_lshl_add_u64 v[4:5], v[2:3], 3, s[4:5]
	v_mov_b32_e32 v2, v3
	global_store_dwordx2 v[4:5], v[2:3], off
	s_or_b64 exec, exec, s[0:1]
	v_cmp_gt_u32_e32 vcc, 64, v0
	s_and_saveexec_b64 s[0:1], vcc
	s_cbranch_execz .LBB128_9
.LBB128_12:
	v_mov_b32_e32 v1, 0
	v_lshl_add_u64 v[2:3], v[0:1], 3, s[4:5]
	v_mov_b32_e32 v5, 0xff
	v_mov_b32_e32 v4, v1
	global_store_dwordx2 v[2:3], v[4:5], off
	s_endpgm
	.section	.rodata,"a",@progbits
	.p2align	6, 0x0
	.amdhsa_kernel _ZN7rocprim17ROCPRIM_400000_NS6detail31init_lookback_scan_state_kernelINS1_19lookback_scan_stateIjLb0ELb1EEENS1_16block_id_wrapperIjLb1EEEEEvT_jT0_jPNS7_10value_typeE
		.amdhsa_group_segment_fixed_size 0
		.amdhsa_private_segment_fixed_size 0
		.amdhsa_kernarg_size 296
		.amdhsa_user_sgpr_count 2
		.amdhsa_user_sgpr_dispatch_ptr 0
		.amdhsa_user_sgpr_queue_ptr 0
		.amdhsa_user_sgpr_kernarg_segment_ptr 1
		.amdhsa_user_sgpr_dispatch_id 0
		.amdhsa_user_sgpr_kernarg_preload_length 0
		.amdhsa_user_sgpr_kernarg_preload_offset 0
		.amdhsa_user_sgpr_private_segment_size 0
		.amdhsa_uses_dynamic_stack 0
		.amdhsa_enable_private_segment 0
		.amdhsa_system_sgpr_workgroup_id_x 1
		.amdhsa_system_sgpr_workgroup_id_y 0
		.amdhsa_system_sgpr_workgroup_id_z 0
		.amdhsa_system_sgpr_workgroup_info 0
		.amdhsa_system_vgpr_workitem_id 0
		.amdhsa_next_free_vgpr 6
		.amdhsa_next_free_sgpr 11
		.amdhsa_accum_offset 8
		.amdhsa_reserve_vcc 1
		.amdhsa_float_round_mode_32 0
		.amdhsa_float_round_mode_16_64 0
		.amdhsa_float_denorm_mode_32 3
		.amdhsa_float_denorm_mode_16_64 3
		.amdhsa_dx10_clamp 1
		.amdhsa_ieee_mode 1
		.amdhsa_fp16_overflow 0
		.amdhsa_tg_split 0
		.amdhsa_exception_fp_ieee_invalid_op 0
		.amdhsa_exception_fp_denorm_src 0
		.amdhsa_exception_fp_ieee_div_zero 0
		.amdhsa_exception_fp_ieee_overflow 0
		.amdhsa_exception_fp_ieee_underflow 0
		.amdhsa_exception_fp_ieee_inexact 0
		.amdhsa_exception_int_div_zero 0
	.end_amdhsa_kernel
	.section	.text._ZN7rocprim17ROCPRIM_400000_NS6detail31init_lookback_scan_state_kernelINS1_19lookback_scan_stateIjLb0ELb1EEENS1_16block_id_wrapperIjLb1EEEEEvT_jT0_jPNS7_10value_typeE,"axG",@progbits,_ZN7rocprim17ROCPRIM_400000_NS6detail31init_lookback_scan_state_kernelINS1_19lookback_scan_stateIjLb0ELb1EEENS1_16block_id_wrapperIjLb1EEEEEvT_jT0_jPNS7_10value_typeE,comdat
.Lfunc_end128:
	.size	_ZN7rocprim17ROCPRIM_400000_NS6detail31init_lookback_scan_state_kernelINS1_19lookback_scan_stateIjLb0ELb1EEENS1_16block_id_wrapperIjLb1EEEEEvT_jT0_jPNS7_10value_typeE, .Lfunc_end128-_ZN7rocprim17ROCPRIM_400000_NS6detail31init_lookback_scan_state_kernelINS1_19lookback_scan_stateIjLb0ELb1EEENS1_16block_id_wrapperIjLb1EEEEEvT_jT0_jPNS7_10value_typeE
                                        ; -- End function
	.section	.AMDGPU.csdata,"",@progbits
; Kernel info:
; codeLenInByte = 356
; NumSgprs: 17
; NumVgprs: 6
; NumAgprs: 0
; TotalNumVgprs: 6
; ScratchSize: 0
; MemoryBound: 0
; FloatMode: 240
; IeeeMode: 1
; LDSByteSize: 0 bytes/workgroup (compile time only)
; SGPRBlocks: 2
; VGPRBlocks: 0
; NumSGPRsForWavesPerEU: 17
; NumVGPRsForWavesPerEU: 6
; AccumOffset: 8
; Occupancy: 8
; WaveLimiterHint : 0
; COMPUTE_PGM_RSRC2:SCRATCH_EN: 0
; COMPUTE_PGM_RSRC2:USER_SGPR: 2
; COMPUTE_PGM_RSRC2:TRAP_HANDLER: 0
; COMPUTE_PGM_RSRC2:TGID_X_EN: 1
; COMPUTE_PGM_RSRC2:TGID_Y_EN: 0
; COMPUTE_PGM_RSRC2:TGID_Z_EN: 0
; COMPUTE_PGM_RSRC2:TIDIG_COMP_CNT: 0
; COMPUTE_PGM_RSRC3_GFX90A:ACCUM_OFFSET: 1
; COMPUTE_PGM_RSRC3_GFX90A:TG_SPLIT: 0
	.section	.text._ZN7rocprim17ROCPRIM_400000_NS6detail17trampoline_kernelINS0_14default_configENS1_25partition_config_selectorILNS1_17partition_subalgoE8EN6thrust23THRUST_200600_302600_NS5tupleIffNS7_9null_typeES9_S9_S9_S9_S9_S9_S9_EENS0_10empty_typeEbEEZZNS1_14partition_implILS5_8ELb0ES3_jNS7_6detail15normal_iteratorINS7_10device_ptrISA_EEEEPSB_PKSB_NS0_5tupleIJSI_SB_EEENSM_IJSJ_SJ_EEENS0_18inequality_wrapperINS7_8equal_toISA_EEEEPmJSB_EEE10hipError_tPvRmT3_T4_T5_T6_T7_T9_mT8_P12ihipStream_tbDpT10_ENKUlT_T0_E_clISt17integral_constantIbLb0EES1C_IbLb1EEEEDaS18_S19_EUlS18_E_NS1_11comp_targetILNS1_3genE0ELNS1_11target_archE4294967295ELNS1_3gpuE0ELNS1_3repE0EEENS1_30default_config_static_selectorELNS0_4arch9wavefront6targetE1EEEvT1_,"axG",@progbits,_ZN7rocprim17ROCPRIM_400000_NS6detail17trampoline_kernelINS0_14default_configENS1_25partition_config_selectorILNS1_17partition_subalgoE8EN6thrust23THRUST_200600_302600_NS5tupleIffNS7_9null_typeES9_S9_S9_S9_S9_S9_S9_EENS0_10empty_typeEbEEZZNS1_14partition_implILS5_8ELb0ES3_jNS7_6detail15normal_iteratorINS7_10device_ptrISA_EEEEPSB_PKSB_NS0_5tupleIJSI_SB_EEENSM_IJSJ_SJ_EEENS0_18inequality_wrapperINS7_8equal_toISA_EEEEPmJSB_EEE10hipError_tPvRmT3_T4_T5_T6_T7_T9_mT8_P12ihipStream_tbDpT10_ENKUlT_T0_E_clISt17integral_constantIbLb0EES1C_IbLb1EEEEDaS18_S19_EUlS18_E_NS1_11comp_targetILNS1_3genE0ELNS1_11target_archE4294967295ELNS1_3gpuE0ELNS1_3repE0EEENS1_30default_config_static_selectorELNS0_4arch9wavefront6targetE1EEEvT1_,comdat
	.protected	_ZN7rocprim17ROCPRIM_400000_NS6detail17trampoline_kernelINS0_14default_configENS1_25partition_config_selectorILNS1_17partition_subalgoE8EN6thrust23THRUST_200600_302600_NS5tupleIffNS7_9null_typeES9_S9_S9_S9_S9_S9_S9_EENS0_10empty_typeEbEEZZNS1_14partition_implILS5_8ELb0ES3_jNS7_6detail15normal_iteratorINS7_10device_ptrISA_EEEEPSB_PKSB_NS0_5tupleIJSI_SB_EEENSM_IJSJ_SJ_EEENS0_18inequality_wrapperINS7_8equal_toISA_EEEEPmJSB_EEE10hipError_tPvRmT3_T4_T5_T6_T7_T9_mT8_P12ihipStream_tbDpT10_ENKUlT_T0_E_clISt17integral_constantIbLb0EES1C_IbLb1EEEEDaS18_S19_EUlS18_E_NS1_11comp_targetILNS1_3genE0ELNS1_11target_archE4294967295ELNS1_3gpuE0ELNS1_3repE0EEENS1_30default_config_static_selectorELNS0_4arch9wavefront6targetE1EEEvT1_ ; -- Begin function _ZN7rocprim17ROCPRIM_400000_NS6detail17trampoline_kernelINS0_14default_configENS1_25partition_config_selectorILNS1_17partition_subalgoE8EN6thrust23THRUST_200600_302600_NS5tupleIffNS7_9null_typeES9_S9_S9_S9_S9_S9_S9_EENS0_10empty_typeEbEEZZNS1_14partition_implILS5_8ELb0ES3_jNS7_6detail15normal_iteratorINS7_10device_ptrISA_EEEEPSB_PKSB_NS0_5tupleIJSI_SB_EEENSM_IJSJ_SJ_EEENS0_18inequality_wrapperINS7_8equal_toISA_EEEEPmJSB_EEE10hipError_tPvRmT3_T4_T5_T6_T7_T9_mT8_P12ihipStream_tbDpT10_ENKUlT_T0_E_clISt17integral_constantIbLb0EES1C_IbLb1EEEEDaS18_S19_EUlS18_E_NS1_11comp_targetILNS1_3genE0ELNS1_11target_archE4294967295ELNS1_3gpuE0ELNS1_3repE0EEENS1_30default_config_static_selectorELNS0_4arch9wavefront6targetE1EEEvT1_
	.globl	_ZN7rocprim17ROCPRIM_400000_NS6detail17trampoline_kernelINS0_14default_configENS1_25partition_config_selectorILNS1_17partition_subalgoE8EN6thrust23THRUST_200600_302600_NS5tupleIffNS7_9null_typeES9_S9_S9_S9_S9_S9_S9_EENS0_10empty_typeEbEEZZNS1_14partition_implILS5_8ELb0ES3_jNS7_6detail15normal_iteratorINS7_10device_ptrISA_EEEEPSB_PKSB_NS0_5tupleIJSI_SB_EEENSM_IJSJ_SJ_EEENS0_18inequality_wrapperINS7_8equal_toISA_EEEEPmJSB_EEE10hipError_tPvRmT3_T4_T5_T6_T7_T9_mT8_P12ihipStream_tbDpT10_ENKUlT_T0_E_clISt17integral_constantIbLb0EES1C_IbLb1EEEEDaS18_S19_EUlS18_E_NS1_11comp_targetILNS1_3genE0ELNS1_11target_archE4294967295ELNS1_3gpuE0ELNS1_3repE0EEENS1_30default_config_static_selectorELNS0_4arch9wavefront6targetE1EEEvT1_
	.p2align	8
	.type	_ZN7rocprim17ROCPRIM_400000_NS6detail17trampoline_kernelINS0_14default_configENS1_25partition_config_selectorILNS1_17partition_subalgoE8EN6thrust23THRUST_200600_302600_NS5tupleIffNS7_9null_typeES9_S9_S9_S9_S9_S9_S9_EENS0_10empty_typeEbEEZZNS1_14partition_implILS5_8ELb0ES3_jNS7_6detail15normal_iteratorINS7_10device_ptrISA_EEEEPSB_PKSB_NS0_5tupleIJSI_SB_EEENSM_IJSJ_SJ_EEENS0_18inequality_wrapperINS7_8equal_toISA_EEEEPmJSB_EEE10hipError_tPvRmT3_T4_T5_T6_T7_T9_mT8_P12ihipStream_tbDpT10_ENKUlT_T0_E_clISt17integral_constantIbLb0EES1C_IbLb1EEEEDaS18_S19_EUlS18_E_NS1_11comp_targetILNS1_3genE0ELNS1_11target_archE4294967295ELNS1_3gpuE0ELNS1_3repE0EEENS1_30default_config_static_selectorELNS0_4arch9wavefront6targetE1EEEvT1_,@function
_ZN7rocprim17ROCPRIM_400000_NS6detail17trampoline_kernelINS0_14default_configENS1_25partition_config_selectorILNS1_17partition_subalgoE8EN6thrust23THRUST_200600_302600_NS5tupleIffNS7_9null_typeES9_S9_S9_S9_S9_S9_S9_EENS0_10empty_typeEbEEZZNS1_14partition_implILS5_8ELb0ES3_jNS7_6detail15normal_iteratorINS7_10device_ptrISA_EEEEPSB_PKSB_NS0_5tupleIJSI_SB_EEENSM_IJSJ_SJ_EEENS0_18inequality_wrapperINS7_8equal_toISA_EEEEPmJSB_EEE10hipError_tPvRmT3_T4_T5_T6_T7_T9_mT8_P12ihipStream_tbDpT10_ENKUlT_T0_E_clISt17integral_constantIbLb0EES1C_IbLb1EEEEDaS18_S19_EUlS18_E_NS1_11comp_targetILNS1_3genE0ELNS1_11target_archE4294967295ELNS1_3gpuE0ELNS1_3repE0EEENS1_30default_config_static_selectorELNS0_4arch9wavefront6targetE1EEEvT1_: ; @_ZN7rocprim17ROCPRIM_400000_NS6detail17trampoline_kernelINS0_14default_configENS1_25partition_config_selectorILNS1_17partition_subalgoE8EN6thrust23THRUST_200600_302600_NS5tupleIffNS7_9null_typeES9_S9_S9_S9_S9_S9_S9_EENS0_10empty_typeEbEEZZNS1_14partition_implILS5_8ELb0ES3_jNS7_6detail15normal_iteratorINS7_10device_ptrISA_EEEEPSB_PKSB_NS0_5tupleIJSI_SB_EEENSM_IJSJ_SJ_EEENS0_18inequality_wrapperINS7_8equal_toISA_EEEEPmJSB_EEE10hipError_tPvRmT3_T4_T5_T6_T7_T9_mT8_P12ihipStream_tbDpT10_ENKUlT_T0_E_clISt17integral_constantIbLb0EES1C_IbLb1EEEEDaS18_S19_EUlS18_E_NS1_11comp_targetILNS1_3genE0ELNS1_11target_archE4294967295ELNS1_3gpuE0ELNS1_3repE0EEENS1_30default_config_static_selectorELNS0_4arch9wavefront6targetE1EEEvT1_
; %bb.0:
	.section	.rodata,"a",@progbits
	.p2align	6, 0x0
	.amdhsa_kernel _ZN7rocprim17ROCPRIM_400000_NS6detail17trampoline_kernelINS0_14default_configENS1_25partition_config_selectorILNS1_17partition_subalgoE8EN6thrust23THRUST_200600_302600_NS5tupleIffNS7_9null_typeES9_S9_S9_S9_S9_S9_S9_EENS0_10empty_typeEbEEZZNS1_14partition_implILS5_8ELb0ES3_jNS7_6detail15normal_iteratorINS7_10device_ptrISA_EEEEPSB_PKSB_NS0_5tupleIJSI_SB_EEENSM_IJSJ_SJ_EEENS0_18inequality_wrapperINS7_8equal_toISA_EEEEPmJSB_EEE10hipError_tPvRmT3_T4_T5_T6_T7_T9_mT8_P12ihipStream_tbDpT10_ENKUlT_T0_E_clISt17integral_constantIbLb0EES1C_IbLb1EEEEDaS18_S19_EUlS18_E_NS1_11comp_targetILNS1_3genE0ELNS1_11target_archE4294967295ELNS1_3gpuE0ELNS1_3repE0EEENS1_30default_config_static_selectorELNS0_4arch9wavefront6targetE1EEEvT1_
		.amdhsa_group_segment_fixed_size 0
		.amdhsa_private_segment_fixed_size 0
		.amdhsa_kernarg_size 128
		.amdhsa_user_sgpr_count 2
		.amdhsa_user_sgpr_dispatch_ptr 0
		.amdhsa_user_sgpr_queue_ptr 0
		.amdhsa_user_sgpr_kernarg_segment_ptr 1
		.amdhsa_user_sgpr_dispatch_id 0
		.amdhsa_user_sgpr_kernarg_preload_length 0
		.amdhsa_user_sgpr_kernarg_preload_offset 0
		.amdhsa_user_sgpr_private_segment_size 0
		.amdhsa_uses_dynamic_stack 0
		.amdhsa_enable_private_segment 0
		.amdhsa_system_sgpr_workgroup_id_x 1
		.amdhsa_system_sgpr_workgroup_id_y 0
		.amdhsa_system_sgpr_workgroup_id_z 0
		.amdhsa_system_sgpr_workgroup_info 0
		.amdhsa_system_vgpr_workitem_id 0
		.amdhsa_next_free_vgpr 1
		.amdhsa_next_free_sgpr 0
		.amdhsa_accum_offset 4
		.amdhsa_reserve_vcc 0
		.amdhsa_float_round_mode_32 0
		.amdhsa_float_round_mode_16_64 0
		.amdhsa_float_denorm_mode_32 3
		.amdhsa_float_denorm_mode_16_64 3
		.amdhsa_dx10_clamp 1
		.amdhsa_ieee_mode 1
		.amdhsa_fp16_overflow 0
		.amdhsa_tg_split 0
		.amdhsa_exception_fp_ieee_invalid_op 0
		.amdhsa_exception_fp_denorm_src 0
		.amdhsa_exception_fp_ieee_div_zero 0
		.amdhsa_exception_fp_ieee_overflow 0
		.amdhsa_exception_fp_ieee_underflow 0
		.amdhsa_exception_fp_ieee_inexact 0
		.amdhsa_exception_int_div_zero 0
	.end_amdhsa_kernel
	.section	.text._ZN7rocprim17ROCPRIM_400000_NS6detail17trampoline_kernelINS0_14default_configENS1_25partition_config_selectorILNS1_17partition_subalgoE8EN6thrust23THRUST_200600_302600_NS5tupleIffNS7_9null_typeES9_S9_S9_S9_S9_S9_S9_EENS0_10empty_typeEbEEZZNS1_14partition_implILS5_8ELb0ES3_jNS7_6detail15normal_iteratorINS7_10device_ptrISA_EEEEPSB_PKSB_NS0_5tupleIJSI_SB_EEENSM_IJSJ_SJ_EEENS0_18inequality_wrapperINS7_8equal_toISA_EEEEPmJSB_EEE10hipError_tPvRmT3_T4_T5_T6_T7_T9_mT8_P12ihipStream_tbDpT10_ENKUlT_T0_E_clISt17integral_constantIbLb0EES1C_IbLb1EEEEDaS18_S19_EUlS18_E_NS1_11comp_targetILNS1_3genE0ELNS1_11target_archE4294967295ELNS1_3gpuE0ELNS1_3repE0EEENS1_30default_config_static_selectorELNS0_4arch9wavefront6targetE1EEEvT1_,"axG",@progbits,_ZN7rocprim17ROCPRIM_400000_NS6detail17trampoline_kernelINS0_14default_configENS1_25partition_config_selectorILNS1_17partition_subalgoE8EN6thrust23THRUST_200600_302600_NS5tupleIffNS7_9null_typeES9_S9_S9_S9_S9_S9_S9_EENS0_10empty_typeEbEEZZNS1_14partition_implILS5_8ELb0ES3_jNS7_6detail15normal_iteratorINS7_10device_ptrISA_EEEEPSB_PKSB_NS0_5tupleIJSI_SB_EEENSM_IJSJ_SJ_EEENS0_18inequality_wrapperINS7_8equal_toISA_EEEEPmJSB_EEE10hipError_tPvRmT3_T4_T5_T6_T7_T9_mT8_P12ihipStream_tbDpT10_ENKUlT_T0_E_clISt17integral_constantIbLb0EES1C_IbLb1EEEEDaS18_S19_EUlS18_E_NS1_11comp_targetILNS1_3genE0ELNS1_11target_archE4294967295ELNS1_3gpuE0ELNS1_3repE0EEENS1_30default_config_static_selectorELNS0_4arch9wavefront6targetE1EEEvT1_,comdat
.Lfunc_end129:
	.size	_ZN7rocprim17ROCPRIM_400000_NS6detail17trampoline_kernelINS0_14default_configENS1_25partition_config_selectorILNS1_17partition_subalgoE8EN6thrust23THRUST_200600_302600_NS5tupleIffNS7_9null_typeES9_S9_S9_S9_S9_S9_S9_EENS0_10empty_typeEbEEZZNS1_14partition_implILS5_8ELb0ES3_jNS7_6detail15normal_iteratorINS7_10device_ptrISA_EEEEPSB_PKSB_NS0_5tupleIJSI_SB_EEENSM_IJSJ_SJ_EEENS0_18inequality_wrapperINS7_8equal_toISA_EEEEPmJSB_EEE10hipError_tPvRmT3_T4_T5_T6_T7_T9_mT8_P12ihipStream_tbDpT10_ENKUlT_T0_E_clISt17integral_constantIbLb0EES1C_IbLb1EEEEDaS18_S19_EUlS18_E_NS1_11comp_targetILNS1_3genE0ELNS1_11target_archE4294967295ELNS1_3gpuE0ELNS1_3repE0EEENS1_30default_config_static_selectorELNS0_4arch9wavefront6targetE1EEEvT1_, .Lfunc_end129-_ZN7rocprim17ROCPRIM_400000_NS6detail17trampoline_kernelINS0_14default_configENS1_25partition_config_selectorILNS1_17partition_subalgoE8EN6thrust23THRUST_200600_302600_NS5tupleIffNS7_9null_typeES9_S9_S9_S9_S9_S9_S9_EENS0_10empty_typeEbEEZZNS1_14partition_implILS5_8ELb0ES3_jNS7_6detail15normal_iteratorINS7_10device_ptrISA_EEEEPSB_PKSB_NS0_5tupleIJSI_SB_EEENSM_IJSJ_SJ_EEENS0_18inequality_wrapperINS7_8equal_toISA_EEEEPmJSB_EEE10hipError_tPvRmT3_T4_T5_T6_T7_T9_mT8_P12ihipStream_tbDpT10_ENKUlT_T0_E_clISt17integral_constantIbLb0EES1C_IbLb1EEEEDaS18_S19_EUlS18_E_NS1_11comp_targetILNS1_3genE0ELNS1_11target_archE4294967295ELNS1_3gpuE0ELNS1_3repE0EEENS1_30default_config_static_selectorELNS0_4arch9wavefront6targetE1EEEvT1_
                                        ; -- End function
	.section	.AMDGPU.csdata,"",@progbits
; Kernel info:
; codeLenInByte = 0
; NumSgprs: 6
; NumVgprs: 0
; NumAgprs: 0
; TotalNumVgprs: 0
; ScratchSize: 0
; MemoryBound: 0
; FloatMode: 240
; IeeeMode: 1
; LDSByteSize: 0 bytes/workgroup (compile time only)
; SGPRBlocks: 0
; VGPRBlocks: 0
; NumSGPRsForWavesPerEU: 6
; NumVGPRsForWavesPerEU: 1
; AccumOffset: 4
; Occupancy: 8
; WaveLimiterHint : 0
; COMPUTE_PGM_RSRC2:SCRATCH_EN: 0
; COMPUTE_PGM_RSRC2:USER_SGPR: 2
; COMPUTE_PGM_RSRC2:TRAP_HANDLER: 0
; COMPUTE_PGM_RSRC2:TGID_X_EN: 1
; COMPUTE_PGM_RSRC2:TGID_Y_EN: 0
; COMPUTE_PGM_RSRC2:TGID_Z_EN: 0
; COMPUTE_PGM_RSRC2:TIDIG_COMP_CNT: 0
; COMPUTE_PGM_RSRC3_GFX90A:ACCUM_OFFSET: 0
; COMPUTE_PGM_RSRC3_GFX90A:TG_SPLIT: 0
	.section	.text._ZN7rocprim17ROCPRIM_400000_NS6detail17trampoline_kernelINS0_14default_configENS1_25partition_config_selectorILNS1_17partition_subalgoE8EN6thrust23THRUST_200600_302600_NS5tupleIffNS7_9null_typeES9_S9_S9_S9_S9_S9_S9_EENS0_10empty_typeEbEEZZNS1_14partition_implILS5_8ELb0ES3_jNS7_6detail15normal_iteratorINS7_10device_ptrISA_EEEEPSB_PKSB_NS0_5tupleIJSI_SB_EEENSM_IJSJ_SJ_EEENS0_18inequality_wrapperINS7_8equal_toISA_EEEEPmJSB_EEE10hipError_tPvRmT3_T4_T5_T6_T7_T9_mT8_P12ihipStream_tbDpT10_ENKUlT_T0_E_clISt17integral_constantIbLb0EES1C_IbLb1EEEEDaS18_S19_EUlS18_E_NS1_11comp_targetILNS1_3genE5ELNS1_11target_archE942ELNS1_3gpuE9ELNS1_3repE0EEENS1_30default_config_static_selectorELNS0_4arch9wavefront6targetE1EEEvT1_,"axG",@progbits,_ZN7rocprim17ROCPRIM_400000_NS6detail17trampoline_kernelINS0_14default_configENS1_25partition_config_selectorILNS1_17partition_subalgoE8EN6thrust23THRUST_200600_302600_NS5tupleIffNS7_9null_typeES9_S9_S9_S9_S9_S9_S9_EENS0_10empty_typeEbEEZZNS1_14partition_implILS5_8ELb0ES3_jNS7_6detail15normal_iteratorINS7_10device_ptrISA_EEEEPSB_PKSB_NS0_5tupleIJSI_SB_EEENSM_IJSJ_SJ_EEENS0_18inequality_wrapperINS7_8equal_toISA_EEEEPmJSB_EEE10hipError_tPvRmT3_T4_T5_T6_T7_T9_mT8_P12ihipStream_tbDpT10_ENKUlT_T0_E_clISt17integral_constantIbLb0EES1C_IbLb1EEEEDaS18_S19_EUlS18_E_NS1_11comp_targetILNS1_3genE5ELNS1_11target_archE942ELNS1_3gpuE9ELNS1_3repE0EEENS1_30default_config_static_selectorELNS0_4arch9wavefront6targetE1EEEvT1_,comdat
	.protected	_ZN7rocprim17ROCPRIM_400000_NS6detail17trampoline_kernelINS0_14default_configENS1_25partition_config_selectorILNS1_17partition_subalgoE8EN6thrust23THRUST_200600_302600_NS5tupleIffNS7_9null_typeES9_S9_S9_S9_S9_S9_S9_EENS0_10empty_typeEbEEZZNS1_14partition_implILS5_8ELb0ES3_jNS7_6detail15normal_iteratorINS7_10device_ptrISA_EEEEPSB_PKSB_NS0_5tupleIJSI_SB_EEENSM_IJSJ_SJ_EEENS0_18inequality_wrapperINS7_8equal_toISA_EEEEPmJSB_EEE10hipError_tPvRmT3_T4_T5_T6_T7_T9_mT8_P12ihipStream_tbDpT10_ENKUlT_T0_E_clISt17integral_constantIbLb0EES1C_IbLb1EEEEDaS18_S19_EUlS18_E_NS1_11comp_targetILNS1_3genE5ELNS1_11target_archE942ELNS1_3gpuE9ELNS1_3repE0EEENS1_30default_config_static_selectorELNS0_4arch9wavefront6targetE1EEEvT1_ ; -- Begin function _ZN7rocprim17ROCPRIM_400000_NS6detail17trampoline_kernelINS0_14default_configENS1_25partition_config_selectorILNS1_17partition_subalgoE8EN6thrust23THRUST_200600_302600_NS5tupleIffNS7_9null_typeES9_S9_S9_S9_S9_S9_S9_EENS0_10empty_typeEbEEZZNS1_14partition_implILS5_8ELb0ES3_jNS7_6detail15normal_iteratorINS7_10device_ptrISA_EEEEPSB_PKSB_NS0_5tupleIJSI_SB_EEENSM_IJSJ_SJ_EEENS0_18inequality_wrapperINS7_8equal_toISA_EEEEPmJSB_EEE10hipError_tPvRmT3_T4_T5_T6_T7_T9_mT8_P12ihipStream_tbDpT10_ENKUlT_T0_E_clISt17integral_constantIbLb0EES1C_IbLb1EEEEDaS18_S19_EUlS18_E_NS1_11comp_targetILNS1_3genE5ELNS1_11target_archE942ELNS1_3gpuE9ELNS1_3repE0EEENS1_30default_config_static_selectorELNS0_4arch9wavefront6targetE1EEEvT1_
	.globl	_ZN7rocprim17ROCPRIM_400000_NS6detail17trampoline_kernelINS0_14default_configENS1_25partition_config_selectorILNS1_17partition_subalgoE8EN6thrust23THRUST_200600_302600_NS5tupleIffNS7_9null_typeES9_S9_S9_S9_S9_S9_S9_EENS0_10empty_typeEbEEZZNS1_14partition_implILS5_8ELb0ES3_jNS7_6detail15normal_iteratorINS7_10device_ptrISA_EEEEPSB_PKSB_NS0_5tupleIJSI_SB_EEENSM_IJSJ_SJ_EEENS0_18inequality_wrapperINS7_8equal_toISA_EEEEPmJSB_EEE10hipError_tPvRmT3_T4_T5_T6_T7_T9_mT8_P12ihipStream_tbDpT10_ENKUlT_T0_E_clISt17integral_constantIbLb0EES1C_IbLb1EEEEDaS18_S19_EUlS18_E_NS1_11comp_targetILNS1_3genE5ELNS1_11target_archE942ELNS1_3gpuE9ELNS1_3repE0EEENS1_30default_config_static_selectorELNS0_4arch9wavefront6targetE1EEEvT1_
	.p2align	8
	.type	_ZN7rocprim17ROCPRIM_400000_NS6detail17trampoline_kernelINS0_14default_configENS1_25partition_config_selectorILNS1_17partition_subalgoE8EN6thrust23THRUST_200600_302600_NS5tupleIffNS7_9null_typeES9_S9_S9_S9_S9_S9_S9_EENS0_10empty_typeEbEEZZNS1_14partition_implILS5_8ELb0ES3_jNS7_6detail15normal_iteratorINS7_10device_ptrISA_EEEEPSB_PKSB_NS0_5tupleIJSI_SB_EEENSM_IJSJ_SJ_EEENS0_18inequality_wrapperINS7_8equal_toISA_EEEEPmJSB_EEE10hipError_tPvRmT3_T4_T5_T6_T7_T9_mT8_P12ihipStream_tbDpT10_ENKUlT_T0_E_clISt17integral_constantIbLb0EES1C_IbLb1EEEEDaS18_S19_EUlS18_E_NS1_11comp_targetILNS1_3genE5ELNS1_11target_archE942ELNS1_3gpuE9ELNS1_3repE0EEENS1_30default_config_static_selectorELNS0_4arch9wavefront6targetE1EEEvT1_,@function
_ZN7rocprim17ROCPRIM_400000_NS6detail17trampoline_kernelINS0_14default_configENS1_25partition_config_selectorILNS1_17partition_subalgoE8EN6thrust23THRUST_200600_302600_NS5tupleIffNS7_9null_typeES9_S9_S9_S9_S9_S9_S9_EENS0_10empty_typeEbEEZZNS1_14partition_implILS5_8ELb0ES3_jNS7_6detail15normal_iteratorINS7_10device_ptrISA_EEEEPSB_PKSB_NS0_5tupleIJSI_SB_EEENSM_IJSJ_SJ_EEENS0_18inequality_wrapperINS7_8equal_toISA_EEEEPmJSB_EEE10hipError_tPvRmT3_T4_T5_T6_T7_T9_mT8_P12ihipStream_tbDpT10_ENKUlT_T0_E_clISt17integral_constantIbLb0EES1C_IbLb1EEEEDaS18_S19_EUlS18_E_NS1_11comp_targetILNS1_3genE5ELNS1_11target_archE942ELNS1_3gpuE9ELNS1_3repE0EEENS1_30default_config_static_selectorELNS0_4arch9wavefront6targetE1EEEvT1_: ; @_ZN7rocprim17ROCPRIM_400000_NS6detail17trampoline_kernelINS0_14default_configENS1_25partition_config_selectorILNS1_17partition_subalgoE8EN6thrust23THRUST_200600_302600_NS5tupleIffNS7_9null_typeES9_S9_S9_S9_S9_S9_S9_EENS0_10empty_typeEbEEZZNS1_14partition_implILS5_8ELb0ES3_jNS7_6detail15normal_iteratorINS7_10device_ptrISA_EEEEPSB_PKSB_NS0_5tupleIJSI_SB_EEENSM_IJSJ_SJ_EEENS0_18inequality_wrapperINS7_8equal_toISA_EEEEPmJSB_EEE10hipError_tPvRmT3_T4_T5_T6_T7_T9_mT8_P12ihipStream_tbDpT10_ENKUlT_T0_E_clISt17integral_constantIbLb0EES1C_IbLb1EEEEDaS18_S19_EUlS18_E_NS1_11comp_targetILNS1_3genE5ELNS1_11target_archE942ELNS1_3gpuE9ELNS1_3repE0EEENS1_30default_config_static_selectorELNS0_4arch9wavefront6targetE1EEEvT1_
; %bb.0:
	s_load_dwordx4 s[28:31], s[0:1], 0x40
	s_load_dwordx2 s[8:9], s[0:1], 0x50
	s_load_dwordx2 s[38:39], s[0:1], 0x60
	v_cmp_ne_u32_e64 s[2:3], 0, v0
	v_cmp_eq_u32_e64 s[18:19], 0, v0
	s_and_saveexec_b64 s[4:5], s[18:19]
	s_cbranch_execz .LBB130_4
; %bb.1:
	s_mov_b64 s[10:11], exec
	v_mbcnt_lo_u32_b32 v1, s10, 0
	v_mbcnt_hi_u32_b32 v1, s11, v1
	v_cmp_eq_u32_e32 vcc, 0, v1
                                        ; implicit-def: $vgpr2
	s_and_saveexec_b64 s[6:7], vcc
	s_cbranch_execz .LBB130_3
; %bb.2:
	s_load_dwordx2 s[12:13], s[0:1], 0x70
	s_bcnt1_i32_b64 s10, s[10:11]
	v_mov_b32_e32 v2, 0
	v_mov_b32_e32 v3, s10
	s_waitcnt lgkmcnt(0)
	global_atomic_add v2, v2, v3, s[12:13] sc0
.LBB130_3:
	s_or_b64 exec, exec, s[6:7]
	s_waitcnt vmcnt(0)
	v_readfirstlane_b32 s6, v2
	v_mov_b32_e32 v2, 0
	s_nop 0
	v_add_u32_e32 v1, s6, v1
	ds_write_b32 v2, v1
.LBB130_4:
	s_or_b64 exec, exec, s[4:5]
	v_mov_b32_e32 v3, 0
	s_load_dwordx4 s[4:7], s[0:1], 0x8
	s_load_dwordx2 s[34:35], s[0:1], 0x28
	s_load_dword s10, s[0:1], 0x68
	s_waitcnt lgkmcnt(0)
	s_barrier
	ds_read_b32 v1, v3
	s_waitcnt lgkmcnt(0)
	s_barrier
	global_load_dwordx2 v[14:15], v3, s[30:31]
	s_lshl_b64 s[0:1], s[6:7], 3
	s_add_u32 s4, s4, s0
	s_mul_i32 s0, s10, 0xe00
	s_addc_u32 s5, s5, s1
	s_add_i32 s1, s0, s6
	v_mov_b32_e32 v5, s9
	s_add_i32 s9, s10, -1
	s_sub_i32 s46, s8, s1
	s_add_u32 s0, s6, s0
	v_readfirstlane_b32 s33, v1
	s_addc_u32 s1, s7, 0
	v_mov_b32_e32 v4, s8
	s_cmp_eq_u32 s33, s9
	s_movk_i32 s11, 0xe00
	s_cselect_b64 s[30:31], -1, 0
	v_cmp_ge_u64_e32 vcc, s[0:1], v[4:5]
	v_mul_lo_u32 v2, v1, s11
	s_and_b64 s[40:41], vcc, s[30:31]
	s_xor_b64 s[36:37], s[40:41], -1
	v_lshlrev_b64 v[4:5], 3, v[2:3]
	s_mov_b64 s[0:1], -1
	v_lshl_add_u64 v[18:19], s[4:5], 0, v[4:5]
	s_and_b64 vcc, exec, s[36:37]
	s_cbranch_vccz .LBB130_6
; %bb.5:
	v_lshlrev_b32_e32 v2, 3, v0
	v_lshl_add_u64 v[4:5], v[18:19], 0, v[2:3]
	v_add_co_u32_e32 v6, vcc, 0x1000, v4
	s_mov_b64 s[0:1], 0
	s_nop 0
	v_addc_co_u32_e32 v7, vcc, 0, v5, vcc
	v_add_co_u32_e32 v8, vcc, 0x2000, v4
	s_nop 1
	v_addc_co_u32_e32 v9, vcc, 0, v5, vcc
	v_add_co_u32_e32 v10, vcc, 0x3000, v4
	s_nop 1
	v_addc_co_u32_e32 v11, vcc, 0, v5, vcc
	flat_load_dwordx2 v[12:13], v[4:5]
	flat_load_dwordx2 v[16:17], v[6:7]
	flat_load_dwordx2 v[20:21], v[8:9]
	flat_load_dwordx2 v[22:23], v[10:11]
	v_add_co_u32_e32 v6, vcc, 0x4000, v4
	s_nop 1
	v_addc_co_u32_e32 v7, vcc, 0, v5, vcc
	v_add_co_u32_e32 v8, vcc, 0x5000, v4
	s_nop 1
	v_addc_co_u32_e32 v9, vcc, 0, v5, vcc
	;; [unrolled: 3-line block ×3, first 2 shown]
	flat_load_dwordx2 v[10:11], v[6:7]
	flat_load_dwordx2 v[24:25], v[8:9]
	;; [unrolled: 1-line block ×3, first 2 shown]
	s_waitcnt vmcnt(0) lgkmcnt(0)
	ds_write2st64_b64 v2, v[12:13], v[16:17] offset1:8
	ds_write2st64_b64 v2, v[20:21], v[22:23] offset0:16 offset1:24
	ds_write2st64_b64 v2, v[10:11], v[24:25] offset0:32 offset1:40
	ds_write_b64 v2, v[26:27] offset:24576
	s_waitcnt lgkmcnt(0)
	s_barrier
.LBB130_6:
	s_andn2_b64 vcc, exec, s[0:1]
	s_addk_i32 s46, 0xe00
	s_cbranch_vccnz .LBB130_22
; %bb.7:
	v_cmp_gt_u32_e32 vcc, s46, v0
	v_mov_b32_e32 v2, 0
	v_mov_b32_e32 v4, 0
	v_mov_b32_e32 v5, 0
	s_and_saveexec_b64 s[0:1], vcc
	s_cbranch_execz .LBB130_9
; %bb.8:
	v_lshlrev_b32_e32 v4, 3, v0
	v_mov_b32_e32 v5, 0
	v_lshl_add_u64 v[4:5], v[18:19], 0, v[4:5]
	flat_load_dwordx2 v[4:5], v[4:5]
.LBB130_9:
	s_or_b64 exec, exec, s[0:1]
	v_or_b32_e32 v1, 0x200, v0
	v_cmp_gt_u32_e32 vcc, s46, v1
	v_mov_b32_e32 v3, 0
	s_and_saveexec_b64 s[0:1], vcc
	s_cbranch_execz .LBB130_11
; %bb.10:
	v_lshlrev_b32_e32 v2, 3, v1
	v_mov_b32_e32 v3, 0
	v_lshl_add_u64 v[2:3], v[18:19], 0, v[2:3]
	flat_load_dwordx2 v[2:3], v[2:3]
.LBB130_11:
	s_or_b64 exec, exec, s[0:1]
	v_or_b32_e32 v1, 0x400, v0
	v_cmp_gt_u32_e32 vcc, s46, v1
	v_mov_b32_e32 v6, 0
	v_mov_b32_e32 v8, 0
	v_mov_b32_e32 v9, 0
	s_and_saveexec_b64 s[0:1], vcc
	s_cbranch_execz .LBB130_13
; %bb.12:
	v_lshlrev_b32_e32 v8, 3, v1
	v_mov_b32_e32 v9, 0
	v_lshl_add_u64 v[8:9], v[18:19], 0, v[8:9]
	flat_load_dwordx2 v[8:9], v[8:9]
.LBB130_13:
	s_or_b64 exec, exec, s[0:1]
	v_or_b32_e32 v1, 0x600, v0
	v_cmp_gt_u32_e32 vcc, s46, v1
	v_mov_b32_e32 v7, 0
	s_and_saveexec_b64 s[0:1], vcc
	s_cbranch_execz .LBB130_15
; %bb.14:
	v_lshlrev_b32_e32 v6, 3, v1
	v_mov_b32_e32 v7, 0
	v_lshl_add_u64 v[6:7], v[18:19], 0, v[6:7]
	flat_load_dwordx2 v[6:7], v[6:7]
.LBB130_15:
	s_or_b64 exec, exec, s[0:1]
	v_or_b32_e32 v1, 0x800, v0
	;; [unrolled: 26-line block ×3, first 2 shown]
	v_cmp_gt_u32_e32 vcc, s46, v1
	v_mov_b32_e32 v16, 0
	v_mov_b32_e32 v17, 0
	s_and_saveexec_b64 s[0:1], vcc
	s_cbranch_execz .LBB130_21
; %bb.20:
	v_lshlrev_b32_e32 v16, 3, v1
	v_mov_b32_e32 v17, 0
	v_lshl_add_u64 v[16:17], v[18:19], 0, v[16:17]
	flat_load_dwordx2 v[16:17], v[16:17]
.LBB130_21:
	s_or_b64 exec, exec, s[0:1]
	v_lshlrev_b32_e32 v1, 3, v0
	s_waitcnt vmcnt(0) lgkmcnt(0)
	ds_write2st64_b64 v1, v[4:5], v[2:3] offset1:8
	ds_write2st64_b64 v1, v[8:9], v[6:7] offset0:16 offset1:24
	ds_write2st64_b64 v1, v[12:13], v[10:11] offset0:32 offset1:40
	ds_write_b64 v1, v[16:17] offset:24576
	s_waitcnt lgkmcnt(0)
	s_barrier
.LBB130_22:
	v_mul_u32_u24_e32 v22, 7, v0
	v_lshlrev_b32_e32 v1, 3, v22
	ds_read2_b64 v[10:13], v1 offset1:1
	ds_read2_b64 v[6:9], v1 offset0:2 offset1:3
	ds_read2_b64 v[2:5], v1 offset0:4 offset1:5
	ds_read_b64 v[16:17], v1 offset:48
	s_cmp_lg_u32 s33, 0
	s_cselect_b64 s[42:43], -1, 0
	s_cmp_lg_u64 s[6:7], 0
	s_cselect_b64 s[0:1], -1, 0
	s_or_b64 s[0:1], s[0:1], s[42:43]
	v_mad_u32_u24 v24, v0, 7, 1
	v_mad_u32_u24 v23, v0, 7, 2
	v_mad_u32_u24 v27, v0, 7, 3
	v_mad_u32_u24 v25, v0, 7, 4
	v_mad_u32_u24 v28, v0, 7, 5
	v_mad_u32_u24 v26, v0, 7, 6
	s_mov_b64 s[44:45], 0
	s_and_b64 vcc, exec, s[0:1]
	s_waitcnt lgkmcnt(0)
	s_barrier
	s_cbranch_vccz .LBB130_27
; %bb.23:
	v_add_co_u32_e32 v18, vcc, -8, v18
	v_lshlrev_b32_e32 v32, 3, v0
	s_nop 0
	v_addc_co_u32_e32 v19, vcc, -1, v19, vcc
	flat_load_dwordx2 v[18:19], v[18:19]
	s_and_b64 vcc, exec, s[36:37]
	ds_write_b64 v32, v[16:17]
	s_cbranch_vccz .LBB130_29
; %bb.24:
	s_waitcnt vmcnt(0) lgkmcnt(0)
	v_mov_b64_e32 v[20:21], v[18:19]
	s_barrier
	s_and_saveexec_b64 s[0:1], s[2:3]
	s_cbranch_execz .LBB130_26
; %bb.25:
	v_add_u32_e32 v20, -8, v32
	ds_read_b64 v[20:21], v20
.LBB130_26:
	s_or_b64 exec, exec, s[0:1]
	v_cmp_neq_f32_e32 vcc, v4, v16
	v_cmp_neq_f32_e64 s[0:1], v5, v17
	s_or_b64 s[0:1], vcc, s[0:1]
	v_cmp_neq_f32_e32 vcc, v2, v4
	v_cndmask_b32_e64 v31, 0, 1, s[0:1]
	v_cmp_neq_f32_e64 s[0:1], v3, v5
	s_or_b64 s[0:1], vcc, s[0:1]
	v_cmp_neq_f32_e32 vcc, v8, v2
	v_cndmask_b32_e64 v29, 0, 1, s[0:1]
	;; [unrolled: 4-line block ×5, first 2 shown]
	v_cmp_neq_f32_e64 s[0:1], v11, v13
	s_or_b64 s[0:1], vcc, s[0:1]
	s_waitcnt lgkmcnt(0)
	v_cmp_neq_f32_e32 vcc, v20, v10
	v_cndmask_b32_e64 v35, 0, 1, s[0:1]
	v_lshlrev_b16_e32 v20, 8, v33
	v_cmp_neq_f32_e64 s[0:1], v21, v11
	v_or_b32_sdwa v20, v34, v20 dst_sel:WORD_1 dst_unused:UNUSED_PAD src0_sel:DWORD src1_sel:DWORD
	v_lshlrev_b16_e32 v21, 8, v35
	s_or_b64 s[0:1], vcc, s[0:1]
	v_or_b32_e32 v20, v21, v20
	s_branch .LBB130_33
.LBB130_27:
                                        ; implicit-def: $sgpr0_sgpr1
                                        ; implicit-def: $vgpr31
                                        ; implicit-def: $vgpr29
                                        ; implicit-def: $vgpr30
                                        ; implicit-def: $vgpr20
	s_branch .LBB130_34
.LBB130_28:
                                        ; implicit-def: $vgpr18_vgpr19
	s_and_saveexec_b64 s[2:3], s[44:45]
	s_cbranch_execnz .LBB130_42
	s_branch .LBB130_43
.LBB130_29:
                                        ; implicit-def: $sgpr0_sgpr1
                                        ; implicit-def: $vgpr31
                                        ; implicit-def: $vgpr29
                                        ; implicit-def: $vgpr30
                                        ; implicit-def: $vgpr20
	s_cbranch_execz .LBB130_33
; %bb.30:
	s_waitcnt lgkmcnt(0)
	s_barrier
	s_and_saveexec_b64 s[0:1], s[2:3]
	s_cbranch_execz .LBB130_32
; %bb.31:
	s_waitcnt vmcnt(0)
	v_add_u32_e32 v18, -8, v32
	ds_read_b64 v[18:19], v18
.LBB130_32:
	s_or_b64 exec, exec, s[0:1]
	v_cmp_neq_f32_e64 s[0:1], v4, v16
	v_cmp_neq_f32_e64 s[4:5], v5, v17
	v_cmp_gt_u32_e32 vcc, s46, v26
	s_or_b64 s[0:1], s[0:1], s[4:5]
	s_and_b64 s[0:1], vcc, s[0:1]
	v_cndmask_b32_e64 v31, 0, 1, s[0:1]
	v_cmp_neq_f32_e64 s[0:1], v2, v4
	v_cmp_neq_f32_e64 s[4:5], v3, v5
	v_cmp_gt_u32_e32 vcc, s46, v28
	s_or_b64 s[0:1], s[0:1], s[4:5]
	s_and_b64 s[0:1], vcc, s[0:1]
	v_cndmask_b32_e64 v29, 0, 1, s[0:1]
	;; [unrolled: 6-line block ×6, first 2 shown]
	s_waitcnt vmcnt(0) lgkmcnt(0)
	v_cmp_neq_f32_e64 s[0:1], v18, v10
	v_cmp_neq_f32_e64 s[4:5], v19, v11
	v_lshlrev_b16_e32 v18, 8, v20
	v_cmp_gt_u32_e32 vcc, s46, v22
	s_or_b64 s[0:1], s[0:1], s[4:5]
	v_or_b32_sdwa v18, v21, v18 dst_sel:WORD_1 dst_unused:UNUSED_PAD src0_sel:DWORD src1_sel:DWORD
	v_lshlrev_b16_e32 v19, 8, v32
	s_and_b64 s[0:1], vcc, s[0:1]
	v_or_b32_e32 v20, v19, v18
.LBB130_33:
	s_mov_b64 s[44:45], -1
	s_cbranch_execnz .LBB130_28
.LBB130_34:
	s_movk_i32 s0, 0xffd0
	v_mad_i32_i24 v21, v0, s0, v1
	s_and_b64 vcc, exec, s[36:37]
	v_cmp_neq_f32_e64 s[0:1], v4, v16
	v_cmp_neq_f32_e64 s[4:5], v5, v17
	;; [unrolled: 1-line block ×12, first 2 shown]
	ds_write_b64 v21, v[16:17]
	s_cbranch_vccz .LBB130_38
; %bb.35:
	s_or_b64 s[6:7], s[6:7], s[16:17]
	v_cndmask_b32_e64 v29, 0, 1, s[6:7]
	s_or_b64 s[6:7], s[8:9], s[20:21]
	v_cndmask_b32_e64 v30, 0, 1, s[6:7]
	s_or_b64 s[6:7], s[10:11], s[22:23]
	s_waitcnt vmcnt(0) lgkmcnt(0)
	v_cndmask_b32_e64 v18, 0, 1, s[6:7]
	s_or_b64 s[6:7], s[12:13], s[24:25]
	v_cndmask_b32_e64 v20, 0, 1, s[6:7]
	s_or_b64 s[6:7], s[14:15], s[26:27]
	v_cndmask_b32_e64 v32, 0, 1, s[6:7]
	v_lshlrev_b16_e32 v19, 8, v29
	v_lshlrev_b16_e32 v18, 8, v18
	v_or_b32_e32 v19, v30, v19
	s_or_b64 s[0:1], s[0:1], s[4:5]
	v_or_b32_sdwa v18, v20, v18 dst_sel:WORD_1 dst_unused:UNUSED_PAD src0_sel:DWORD src1_sel:DWORD
	v_lshlrev_b16_e32 v20, 8, v32
	v_and_b32_e32 v19, 0xffff, v19
	v_cndmask_b32_e64 v31, 0, 1, s[0:1]
	v_or_b32_e32 v20, 1, v20
	v_lshl_or_b32 v19, v31, 16, v19
	v_or_b32_sdwa v18, v20, v18 dst_sel:DWORD dst_unused:UNUSED_PAD src0_sel:WORD_0 src1_sel:DWORD
	s_barrier
	s_waitcnt lgkmcnt(0)
                                        ; implicit-def: $sgpr0_sgpr1
                                        ; implicit-def: $vgpr20
	s_and_saveexec_b64 s[4:5], s[2:3]
	s_xor_b64 s[4:5], exec, s[4:5]
	s_cbranch_execz .LBB130_37
; %bb.36:
	v_add_u32_e32 v19, -8, v21
	ds_read_b64 v[32:33], v19
	s_mov_b32 s0, 0x3020104
	v_perm_b32 v20, v18, v18, s0
	s_or_b64 s[44:45], s[44:45], exec
                                        ; implicit-def: $vgpr18_vgpr19
	s_waitcnt lgkmcnt(0)
	v_cmp_neq_f32_e32 vcc, v32, v10
	v_cmp_neq_f32_e64 s[0:1], v33, v11
	s_or_b64 s[0:1], vcc, s[0:1]
	s_and_b64 s[0:1], s[0:1], exec
.LBB130_37:
	s_or_b64 exec, exec, s[4:5]
	s_branch .LBB130_41
.LBB130_38:
                                        ; implicit-def: $sgpr0_sgpr1
                                        ; implicit-def: $vgpr31
                                        ; implicit-def: $vgpr29
                                        ; implicit-def: $vgpr30
                                        ; implicit-def: $vgpr20
                                        ; implicit-def: $vgpr18_vgpr19
	s_cbranch_execz .LBB130_41
; %bb.39:
	v_cmp_neq_f32_e64 s[0:1], v4, v16
	v_cmp_neq_f32_e64 s[4:5], v5, v17
	s_or_b64 s[8:9], s[0:1], s[4:5]
	v_cmp_neq_f32_e64 s[4:5], v2, v4
	v_cmp_neq_f32_e64 s[6:7], v3, v5
	v_cmp_gt_u32_e64 s[0:1], s46, v28
	s_or_b64 s[4:5], s[4:5], s[6:7]
	s_and_b64 s[0:1], s[0:1], s[4:5]
	v_cmp_neq_f32_e64 s[4:5], v8, v2
	v_cmp_neq_f32_e64 s[6:7], v9, v3
	v_cndmask_b32_e64 v29, 0, 1, s[0:1]
	v_cmp_gt_u32_e64 s[0:1], s46, v25
	s_or_b64 s[4:5], s[4:5], s[6:7]
	s_and_b64 s[0:1], s[0:1], s[4:5]
	v_cmp_neq_f32_e64 s[4:5], v6, v8
	v_cmp_neq_f32_e64 s[6:7], v7, v9
	v_cndmask_b32_e64 v30, 0, 1, s[0:1]
	v_cmp_gt_u32_e64 s[0:1], s46, v27
	s_or_b64 s[4:5], s[4:5], s[6:7]
	s_and_b64 s[0:1], s[0:1], s[4:5]
	v_cmp_neq_f32_e64 s[4:5], v12, v6
	v_cmp_neq_f32_e64 s[6:7], v13, v7
	s_waitcnt vmcnt(0) lgkmcnt(0)
	v_cndmask_b32_e64 v18, 0, 1, s[0:1]
	v_cmp_gt_u32_e64 s[0:1], s46, v23
	s_or_b64 s[4:5], s[4:5], s[6:7]
	s_and_b64 s[0:1], s[0:1], s[4:5]
	v_cmp_neq_f32_e64 s[4:5], v10, v12
	v_cmp_neq_f32_e64 s[6:7], v11, v13
	v_cndmask_b32_e64 v20, 0, 1, s[0:1]
	v_cmp_gt_u32_e64 s[0:1], s46, v24
	s_or_b64 s[4:5], s[4:5], s[6:7]
	s_and_b64 s[0:1], s[0:1], s[4:5]
	v_cmp_gt_u32_e32 vcc, s46, v26
	v_cndmask_b32_e64 v32, 0, 1, s[0:1]
	v_lshlrev_b16_e32 v19, 8, v29
	v_lshlrev_b16_e32 v18, 8, v18
	v_or_b32_e32 v19, v30, v19
	s_and_b64 s[0:1], vcc, s[8:9]
	v_or_b32_sdwa v18, v20, v18 dst_sel:WORD_1 dst_unused:UNUSED_PAD src0_sel:DWORD src1_sel:DWORD
	v_lshlrev_b16_e32 v20, 8, v32
	v_and_b32_e32 v19, 0xffff, v19
	v_cndmask_b32_e64 v31, 0, 1, s[0:1]
	v_or_b32_e32 v20, 1, v20
	v_lshl_or_b32 v19, v31, 16, v19
	v_or_b32_sdwa v18, v20, v18 dst_sel:DWORD dst_unused:UNUSED_PAD src0_sel:WORD_0 src1_sel:DWORD
	s_barrier
	s_waitcnt lgkmcnt(0)
                                        ; implicit-def: $sgpr0_sgpr1
                                        ; implicit-def: $vgpr20
	s_and_saveexec_b64 s[4:5], s[2:3]
	s_cbranch_execz .LBB130_137
; %bb.40:
	v_add_u32_e32 v19, -8, v21
	ds_read_b64 v[32:33], v19
	s_mov_b32 s0, 0x3020104
	v_perm_b32 v20, v18, v18, s0
	v_cmp_gt_u32_e32 vcc, s46, v22
	s_or_b64 s[44:45], s[44:45], exec
	s_waitcnt lgkmcnt(0)
	v_cmp_neq_f32_e64 s[0:1], v32, v10
	v_cmp_neq_f32_e64 s[2:3], v33, v11
	s_or_b64 s[0:1], s[0:1], s[2:3]
	s_and_b64 s[0:1], vcc, s[0:1]
	s_and_b64 s[0:1], s[0:1], exec
                                        ; implicit-def: $vgpr18_vgpr19
	s_or_b64 exec, exec, s[4:5]
.LBB130_41:
	s_and_saveexec_b64 s[2:3], s[44:45]
	s_cbranch_execz .LBB130_43
.LBB130_42:
	s_waitcnt vmcnt(0) lgkmcnt(0)
	v_lshlrev_b16_e32 v19, 8, v29
	v_and_b32_e32 v21, 0xff, v31
	v_or_b32_sdwa v19, v30, v19 dst_sel:DWORD dst_unused:UNUSED_PAD src0_sel:BYTE_0 src1_sel:DWORD
	v_lshlrev_b32_e32 v21, 16, v21
	v_cndmask_b32_e64 v18, 0, 1, s[0:1]
	s_movk_i32 s0, 0xff
	v_or_b32_sdwa v19, v19, v21 dst_sel:DWORD dst_unused:UNUSED_PAD src0_sel:WORD_0 src1_sel:DWORD
	v_lshrrev_b32_e32 v21, 24, v20
	v_lshlrev_b16_e32 v21, 8, v21
	v_and_b32_sdwa v29, v20, s0 dst_sel:DWORD dst_unused:UNUSED_PAD src0_sel:WORD_1 src1_sel:DWORD
	v_or_b32_sdwa v21, v29, v21 dst_sel:WORD_1 dst_unused:UNUSED_PAD src0_sel:DWORD src1_sel:DWORD
	v_mov_b32_e32 v29, 8
	v_lshrrev_b32_sdwa v20, v29, v20 dst_sel:BYTE_1 dst_unused:UNUSED_PAD src0_sel:DWORD src1_sel:DWORD
	s_nop 0
	v_or_b32_e32 v18, v18, v20
	v_or_b32_sdwa v18, v18, v21 dst_sel:DWORD dst_unused:UNUSED_PAD src0_sel:WORD_0 src1_sel:DWORD
.LBB130_43:
	s_or_b64 exec, exec, s[2:3]
	s_andn2_b64 vcc, exec, s[40:41]
	s_cbranch_vccnz .LBB130_45
; %bb.44:
	s_waitcnt vmcnt(0) lgkmcnt(0)
	v_and_b32_e32 v20, 0xffff0000, v18
	v_cmp_gt_u32_e32 vcc, s46, v22
	s_mov_b32 s0, 0x40c0100
	s_nop 0
	v_cndmask_b32_e32 v20, v20, v18, vcc
	v_and_b32_e32 v20, 0xffff00ff, v20
	v_cmp_gt_u32_e32 vcc, s46, v24
	s_nop 1
	v_cndmask_b32_e32 v20, v20, v18, vcc
	v_lshrrev_b32_e32 v21, 24, v20
	v_perm_b32 v20, v21, v20, s0
	v_cmp_gt_u32_e32 vcc, s46, v23
	v_and_b32_e32 v21, 0xffffff00, v19
	s_nop 0
	v_cndmask_b32_e32 v20, v20, v18, vcc
	v_and_b32_e32 v20, 0xffffff, v20
	v_cmp_gt_u32_e32 vcc, s46, v27
	s_nop 1
	v_cndmask_b32_e32 v20, v20, v18, vcc
	v_cmp_gt_u32_e32 vcc, s46, v25
	s_nop 1
	v_cndmask_b32_e32 v21, v21, v19, vcc
	v_and_b32_e32 v21, 0xffff00ff, v21
	v_cndmask_b32_e32 v20, v20, v18, vcc
	v_cmp_gt_u32_e32 vcc, s46, v28
	s_nop 1
	v_cndmask_b32_e32 v21, v21, v19, vcc
	v_lshrrev_b32_e32 v22, 24, v21
	v_cndmask_b32_e32 v20, v20, v18, vcc
	v_perm_b32 v21, v22, v21, s0
	v_cmp_gt_u32_e32 vcc, s46, v26
	s_mov_b32 s0, 0x3020104
	s_nop 0
	v_cndmask_b32_e32 v18, v20, v18, vcc
	v_cndmask_b32_e32 v19, v21, v19, vcc
	v_mov_b32_e32 v20, 8
	v_lshrrev_b32_sdwa v20, v20, v19 dst_sel:BYTE_1 dst_unused:UNUSED_PAD src0_sel:DWORD src1_sel:DWORD
	v_perm_b32 v18, v18, v18, s0
	v_or_b32_sdwa v20, v19, v20 dst_sel:DWORD dst_unused:UNUSED_PAD src0_sel:BYTE_0 src1_sel:DWORD
	v_and_b32_e32 v20, 0xffff, v20
	v_bfe_u32 v19, v19, 16, 8
	v_lshl_or_b32 v19, v19, 16, v20
.LBB130_45:
	s_waitcnt vmcnt(0) lgkmcnt(0)
	v_and_b32_e32 v31, 0xff, v18
	v_bfe_u32 v33, v18, 8, 8
	v_bfe_u32 v35, v18, 16, 8
	v_alignbit_b32 v20, v19, v18, 24
	v_and_b32_e32 v37, 0xff, v20
	v_and_b32_e32 v39, 0xff, v19
	v_add3_u32 v21, v33, v31, v35
	v_bfe_u32 v40, v19, 8, 8
	v_bfe_u32 v20, v19, 16, 8
	v_add3_u32 v21, v21, v37, v39
	v_add3_u32 v43, v21, v40, v20
	v_mbcnt_lo_u32_b32 v20, -1, 0
	v_mbcnt_hi_u32_b32 v41, -1, v20
	v_and_b32_e32 v20, 15, v41
	v_cmp_eq_u32_e64 s[14:15], 0, v20
	v_cmp_lt_u32_e64 s[12:13], 1, v20
	v_cmp_lt_u32_e64 s[10:11], 3, v20
	;; [unrolled: 1-line block ×3, first 2 shown]
	v_and_b32_e32 v20, 16, v41
	v_cmp_eq_u32_e64 s[6:7], 0, v20
	v_or_b32_e32 v20, 63, v0
	v_cmp_lt_u32_e64 s[2:3], 31, v41
	v_lshrrev_b32_e32 v42, 6, v0
	v_cmp_eq_u32_e64 s[4:5], v20, v0
	s_and_b64 vcc, exec, s[42:43]
	s_barrier
	s_cbranch_vccz .LBB130_72
; %bb.46:
	v_mov_b32_dpp v20, v43 row_shr:1 row_mask:0xf bank_mask:0xf
	v_cndmask_b32_e64 v20, v20, 0, s[14:15]
	v_add_u32_e32 v20, v20, v43
	s_nop 1
	v_mov_b32_dpp v21, v20 row_shr:2 row_mask:0xf bank_mask:0xf
	v_cndmask_b32_e64 v21, 0, v21, s[12:13]
	v_add_u32_e32 v20, v20, v21
	s_nop 1
	;; [unrolled: 4-line block ×4, first 2 shown]
	v_mov_b32_dpp v21, v20 row_bcast:15 row_mask:0xf bank_mask:0xf
	v_cndmask_b32_e64 v21, v21, 0, s[6:7]
	v_add_u32_e32 v20, v20, v21
	s_nop 1
	v_mov_b32_dpp v21, v20 row_bcast:31 row_mask:0xf bank_mask:0xf
	v_cndmask_b32_e64 v21, 0, v21, s[2:3]
	v_add_u32_e32 v20, v20, v21
	s_and_saveexec_b64 s[0:1], s[4:5]
	s_cbranch_execz .LBB130_48
; %bb.47:
	v_lshlrev_b32_e32 v21, 2, v42
	ds_write_b32 v21, v20
.LBB130_48:
	s_or_b64 exec, exec, s[0:1]
	v_cmp_gt_u32_e32 vcc, 8, v0
	s_waitcnt lgkmcnt(0)
	s_barrier
	s_and_saveexec_b64 s[0:1], vcc
	s_cbranch_execz .LBB130_50
; %bb.49:
	v_lshlrev_b32_e32 v21, 2, v0
	ds_read_b32 v22, v21
	v_and_b32_e32 v23, 7, v41
	v_cmp_ne_u32_e32 vcc, 0, v23
	s_waitcnt lgkmcnt(0)
	v_mov_b32_dpp v24, v22 row_shr:1 row_mask:0xf bank_mask:0xf
	v_cndmask_b32_e32 v24, 0, v24, vcc
	v_add_u32_e32 v22, v24, v22
	v_cmp_lt_u32_e32 vcc, 1, v23
	s_nop 0
	v_mov_b32_dpp v24, v22 row_shr:2 row_mask:0xf bank_mask:0xf
	v_cndmask_b32_e32 v24, 0, v24, vcc
	v_add_u32_e32 v22, v22, v24
	v_cmp_lt_u32_e32 vcc, 3, v23
	s_nop 0
	v_mov_b32_dpp v24, v22 row_shr:4 row_mask:0xf bank_mask:0xf
	v_cndmask_b32_e32 v23, 0, v24, vcc
	v_add_u32_e32 v22, v22, v23
	ds_write_b32 v21, v22
.LBB130_50:
	s_or_b64 exec, exec, s[0:1]
	v_cmp_gt_u32_e32 vcc, 64, v0
	v_cmp_lt_u32_e64 s[0:1], 63, v0
	s_waitcnt lgkmcnt(0)
	s_barrier
	s_waitcnt lgkmcnt(0)
                                        ; implicit-def: $vgpr30
	s_and_saveexec_b64 s[16:17], s[0:1]
	s_cbranch_execz .LBB130_52
; %bb.51:
	v_lshl_add_u32 v21, v42, 2, -4
	ds_read_b32 v30, v21
	s_waitcnt lgkmcnt(0)
	v_add_u32_e32 v20, v30, v20
.LBB130_52:
	s_or_b64 exec, exec, s[16:17]
	v_add_u32_e32 v21, -1, v41
	v_and_b32_e32 v22, 64, v41
	v_cmp_lt_i32_e64 s[0:1], v21, v22
	v_cmp_eq_u32_e64 s[16:17], 0, v41
	s_nop 0
	v_cndmask_b32_e64 v21, v21, v41, s[0:1]
	v_lshlrev_b32_e32 v21, 2, v21
	ds_bpermute_b32 v32, v21, v20
	s_and_saveexec_b64 s[0:1], vcc
	s_cbranch_execz .LBB130_71
; %bb.53:
	v_mov_b32_e32 v27, 0
	ds_read_b32 v20, v27 offset:28
	s_and_saveexec_b64 s[20:21], s[16:17]
	s_cbranch_execz .LBB130_55
; %bb.54:
	s_add_i32 s22, s33, 64
	s_mov_b32 s23, 0
	s_lshl_b64 s[22:23], s[22:23], 3
	s_add_u32 s22, s38, s22
	v_mov_b32_e32 v21, 1
	s_addc_u32 s23, s39, s23
	s_waitcnt lgkmcnt(0)
	global_store_dwordx2 v27, v[20:21], s[22:23] sc1
.LBB130_55:
	s_or_b64 exec, exec, s[20:21]
	v_xad_u32 v22, v41, -1, s33
	v_add_u32_e32 v26, 64, v22
	v_lshl_add_u64 v[28:29], v[26:27], 3, s[38:39]
	global_load_dwordx2 v[24:25], v[28:29], off sc1
	s_waitcnt vmcnt(0)
	v_cmp_eq_u16_sdwa s[22:23], v25, v27 src0_sel:BYTE_0 src1_sel:DWORD
	s_and_saveexec_b64 s[20:21], s[22:23]
	s_cbranch_execz .LBB130_59
; %bb.56:
	s_mov_b64 s[22:23], 0
	v_mov_b32_e32 v21, 0
.LBB130_57:                             ; =>This Inner Loop Header: Depth=1
	global_load_dwordx2 v[24:25], v[28:29], off sc1
	s_waitcnt vmcnt(0)
	v_cmp_ne_u16_sdwa s[24:25], v25, v21 src0_sel:BYTE_0 src1_sel:DWORD
	s_or_b64 s[22:23], s[24:25], s[22:23]
	s_andn2_b64 exec, exec, s[22:23]
	s_cbranch_execnz .LBB130_57
; %bb.58:
	s_or_b64 exec, exec, s[22:23]
.LBB130_59:
	s_or_b64 exec, exec, s[20:21]
	v_and_b32_e32 v36, 63, v41
	v_mov_b32_e32 v34, 2
	v_cmp_ne_u32_e32 vcc, 63, v36
	v_cmp_eq_u16_sdwa s[20:21], v25, v34 src0_sel:BYTE_0 src1_sel:DWORD
	v_lshlrev_b64 v[26:27], v41, -1
	v_addc_co_u32_e32 v28, vcc, 0, v41, vcc
	v_and_b32_e32 v21, s21, v27
	v_lshlrev_b32_e32 v38, 2, v28
	v_or_b32_e32 v21, 0x80000000, v21
	ds_bpermute_b32 v28, v38, v24
	v_and_b32_e32 v23, s20, v26
	v_ffbl_b32_e32 v21, v21
	v_add_u32_e32 v21, 32, v21
	v_ffbl_b32_e32 v23, v23
	v_min_u32_e32 v21, v23, v21
	v_cmp_lt_u32_e32 vcc, v36, v21
	v_add_u32_e32 v45, 2, v36
	v_add_u32_e32 v47, 4, v36
	s_waitcnt lgkmcnt(0)
	v_cndmask_b32_e32 v23, 0, v28, vcc
	v_cmp_gt_u32_e32 vcc, 62, v36
	v_add_u32_e32 v23, v23, v24
	v_add_u32_e32 v49, 8, v36
	v_cndmask_b32_e64 v24, 0, 1, vcc
	v_lshlrev_b32_e32 v24, 1, v24
	v_add_lshl_u32 v44, v24, v41, 2
	ds_bpermute_b32 v24, v44, v23
	v_cmp_le_u32_e32 vcc, v45, v21
	v_add_u32_e32 v51, 16, v36
	v_add_u32_e32 v53, 32, v36
	s_waitcnt lgkmcnt(0)
	v_cndmask_b32_e32 v24, 0, v24, vcc
	v_cmp_gt_u32_e32 vcc, 60, v36
	v_add_u32_e32 v23, v23, v24
	s_nop 0
	v_cndmask_b32_e64 v24, 0, 1, vcc
	v_lshlrev_b32_e32 v24, 2, v24
	v_add_lshl_u32 v46, v24, v41, 2
	ds_bpermute_b32 v24, v46, v23
	v_cmp_le_u32_e32 vcc, v47, v21
	s_waitcnt lgkmcnt(0)
	s_nop 0
	v_cndmask_b32_e32 v24, 0, v24, vcc
	v_cmp_gt_u32_e32 vcc, 56, v36
	v_add_u32_e32 v23, v23, v24
	s_nop 0
	v_cndmask_b32_e64 v24, 0, 1, vcc
	v_lshlrev_b32_e32 v24, 3, v24
	v_add_lshl_u32 v48, v24, v41, 2
	ds_bpermute_b32 v24, v48, v23
	v_cmp_le_u32_e32 vcc, v49, v21
	s_waitcnt lgkmcnt(0)
	s_nop 0
	;; [unrolled: 11-line block ×4, first 2 shown]
	v_cndmask_b32_e32 v21, 0, v24, vcc
	v_add_u32_e32 v24, v23, v21
	v_mov_b32_e32 v23, 0
	s_branch .LBB130_61
.LBB130_60:                             ;   in Loop: Header=BB130_61 Depth=1
	s_or_b64 exec, exec, s[20:21]
	v_cmp_eq_u16_sdwa s[20:21], v25, v34 src0_sel:BYTE_0 src1_sel:DWORD
	ds_bpermute_b32 v54, v38, v24
	v_subrev_u32_e32 v22, 64, v22
	v_and_b32_e32 v28, s21, v27
	v_or_b32_e32 v28, 0x80000000, v28
	v_and_b32_e32 v29, s20, v26
	v_ffbl_b32_e32 v28, v28
	v_add_u32_e32 v28, 32, v28
	v_ffbl_b32_e32 v29, v29
	v_min_u32_e32 v28, v29, v28
	v_cmp_lt_u32_e32 vcc, v36, v28
	s_waitcnt lgkmcnt(0)
	s_nop 0
	v_cndmask_b32_e32 v29, 0, v54, vcc
	v_add_u32_e32 v24, v29, v24
	ds_bpermute_b32 v29, v44, v24
	v_cmp_le_u32_e32 vcc, v45, v28
	s_waitcnt lgkmcnt(0)
	s_nop 0
	v_cndmask_b32_e32 v29, 0, v29, vcc
	v_add_u32_e32 v24, v24, v29
	ds_bpermute_b32 v29, v46, v24
	v_cmp_le_u32_e32 vcc, v47, v28
	;; [unrolled: 6-line block ×5, first 2 shown]
	s_waitcnt lgkmcnt(0)
	s_nop 0
	v_cndmask_b32_e32 v28, 0, v29, vcc
	v_add3_u32 v24, v28, v21, v24
.LBB130_61:                             ; =>This Loop Header: Depth=1
                                        ;     Child Loop BB130_64 Depth 2
	v_cmp_ne_u16_sdwa s[20:21], v25, v34 src0_sel:BYTE_0 src1_sel:DWORD
	s_nop 1
	v_cndmask_b32_e64 v21, 0, 1, s[20:21]
	;;#ASMSTART
	;;#ASMEND
	s_nop 0
	v_cmp_ne_u32_e32 vcc, 0, v21
	s_cmp_lg_u64 vcc, exec
	v_mov_b32_e32 v21, v24
	s_cbranch_scc1 .LBB130_66
; %bb.62:                               ;   in Loop: Header=BB130_61 Depth=1
	v_lshl_add_u64 v[28:29], v[22:23], 3, s[38:39]
	global_load_dwordx2 v[24:25], v[28:29], off sc1
	s_waitcnt vmcnt(0)
	v_cmp_eq_u16_sdwa s[22:23], v25, v23 src0_sel:BYTE_0 src1_sel:DWORD
	s_and_saveexec_b64 s[20:21], s[22:23]
	s_cbranch_execz .LBB130_60
; %bb.63:                               ;   in Loop: Header=BB130_61 Depth=1
	s_mov_b64 s[22:23], 0
.LBB130_64:                             ;   Parent Loop BB130_61 Depth=1
                                        ; =>  This Inner Loop Header: Depth=2
	global_load_dwordx2 v[24:25], v[28:29], off sc1
	s_waitcnt vmcnt(0)
	v_cmp_ne_u16_sdwa s[24:25], v25, v23 src0_sel:BYTE_0 src1_sel:DWORD
	s_or_b64 s[22:23], s[24:25], s[22:23]
	s_andn2_b64 exec, exec, s[22:23]
	s_cbranch_execnz .LBB130_64
; %bb.65:                               ;   in Loop: Header=BB130_61 Depth=1
	s_or_b64 exec, exec, s[22:23]
	s_branch .LBB130_60
.LBB130_66:                             ;   in Loop: Header=BB130_61 Depth=1
                                        ; implicit-def: $vgpr24
                                        ; implicit-def: $vgpr25
	s_cbranch_execz .LBB130_61
; %bb.67:
	s_and_saveexec_b64 s[20:21], s[16:17]
	s_cbranch_execz .LBB130_69
; %bb.68:
	s_add_i32 s22, s33, 64
	s_mov_b32 s23, 0
	s_lshl_b64 s[22:23], s[22:23], 3
	s_add_u32 s22, s38, s22
	v_add_u32_e32 v22, v21, v20
	v_mov_b32_e32 v23, 2
	s_addc_u32 s23, s39, s23
	v_mov_b32_e32 v24, 0
	global_store_dwordx2 v24, v[22:23], s[22:23] sc1
	ds_write_b64 v24, v[20:21] offset:28672
.LBB130_69:
	s_or_b64 exec, exec, s[20:21]
	s_and_b64 exec, exec, s[18:19]
	s_cbranch_execz .LBB130_71
; %bb.70:
	v_mov_b32_e32 v20, 0
	ds_write_b32 v20, v21 offset:28
.LBB130_71:
	s_or_b64 exec, exec, s[0:1]
	v_mov_b32_e32 v20, 0
	s_waitcnt lgkmcnt(0)
	s_barrier
	ds_read_b32 v21, v20 offset:28
	v_cndmask_b32_e64 v22, v32, v30, s[16:17]
	v_cndmask_b32_e64 v22, v22, 0, s[18:19]
	s_waitcnt lgkmcnt(0)
	s_barrier
	v_add_u32_e32 v38, v21, v22
	v_add_u32_e32 v36, v38, v31
	ds_read_b64 v[20:21], v20 offset:28672
	v_add_u32_e32 v34, v36, v33
	v_add_u32_e32 v32, v34, v35
	v_add_u32_e32 v30, v32, v37
	v_add_u32_e32 v28, v30, v39
	v_add_u32_e32 v26, v28, v40
	s_waitcnt lgkmcnt(0)
	v_mov_b32_e32 v22, v21
	v_lshrrev_b64 v[24:25], 24, v[18:19]
	s_branch .LBB130_82
.LBB130_72:
                                        ; implicit-def: $vgpr22
                                        ; implicit-def: $vgpr20
                                        ; implicit-def: $vgpr26
                                        ; implicit-def: $vgpr28
                                        ; implicit-def: $vgpr30
                                        ; implicit-def: $vgpr32
                                        ; implicit-def: $vgpr34
                                        ; implicit-def: $vgpr36
                                        ; implicit-def: $vgpr38
	v_lshrrev_b64 v[24:25], 24, v[18:19]
	s_cbranch_execz .LBB130_82
; %bb.73:
	v_mov_b32_dpp v20, v43 row_shr:1 row_mask:0xf bank_mask:0xf
	v_cndmask_b32_e64 v20, v20, 0, s[14:15]
	v_add_u32_e32 v20, v20, v43
	s_nop 1
	v_mov_b32_dpp v21, v20 row_shr:2 row_mask:0xf bank_mask:0xf
	v_cndmask_b32_e64 v21, 0, v21, s[12:13]
	v_add_u32_e32 v20, v20, v21
	s_nop 1
	;; [unrolled: 4-line block ×4, first 2 shown]
	v_mov_b32_dpp v21, v20 row_bcast:15 row_mask:0xf bank_mask:0xf
	v_cndmask_b32_e64 v21, v21, 0, s[6:7]
	v_add_u32_e32 v20, v20, v21
	s_nop 1
	v_mov_b32_dpp v21, v20 row_bcast:31 row_mask:0xf bank_mask:0xf
	v_cndmask_b32_e64 v21, 0, v21, s[2:3]
	v_add_u32_e32 v20, v20, v21
	s_and_saveexec_b64 s[0:1], s[4:5]
	s_cbranch_execz .LBB130_75
; %bb.74:
	v_lshlrev_b32_e32 v21, 2, v42
	ds_write_b32 v21, v20
.LBB130_75:
	s_or_b64 exec, exec, s[0:1]
	v_cmp_gt_u32_e32 vcc, 8, v0
	s_waitcnt lgkmcnt(0)
	s_barrier
	s_and_saveexec_b64 s[0:1], vcc
	s_cbranch_execz .LBB130_77
; %bb.76:
	s_movk_i32 s2, 0xffcc
	v_mad_i32_i24 v1, v0, s2, v1
	ds_read_b32 v21, v1
	v_and_b32_e32 v22, 7, v41
	v_cmp_ne_u32_e32 vcc, 0, v22
	s_waitcnt lgkmcnt(0)
	v_mov_b32_dpp v23, v21 row_shr:1 row_mask:0xf bank_mask:0xf
	v_cndmask_b32_e32 v23, 0, v23, vcc
	v_add_u32_e32 v21, v23, v21
	v_cmp_lt_u32_e32 vcc, 1, v22
	s_nop 0
	v_mov_b32_dpp v23, v21 row_shr:2 row_mask:0xf bank_mask:0xf
	v_cndmask_b32_e32 v23, 0, v23, vcc
	v_add_u32_e32 v21, v21, v23
	v_cmp_lt_u32_e32 vcc, 3, v22
	s_nop 0
	v_mov_b32_dpp v23, v21 row_shr:4 row_mask:0xf bank_mask:0xf
	v_cndmask_b32_e32 v22, 0, v23, vcc
	v_add_u32_e32 v21, v21, v22
	ds_write_b32 v1, v21
.LBB130_77:
	s_or_b64 exec, exec, s[0:1]
	v_cmp_lt_u32_e32 vcc, 63, v0
	v_mov_b32_e32 v21, 0
	v_mov_b32_e32 v1, 0
	s_waitcnt lgkmcnt(0)
	s_barrier
	s_and_saveexec_b64 s[0:1], vcc
	s_cbranch_execz .LBB130_79
; %bb.78:
	v_lshl_add_u32 v1, v42, 2, -4
	ds_read_b32 v1, v1
.LBB130_79:
	s_or_b64 exec, exec, s[0:1]
	v_add_u32_e32 v22, -1, v41
	v_and_b32_e32 v23, 64, v41
	v_cmp_lt_i32_e32 vcc, v22, v23
	s_waitcnt lgkmcnt(0)
	v_add_u32_e32 v20, v1, v20
	v_cndmask_b32_e32 v22, v22, v41, vcc
	v_lshlrev_b32_e32 v22, 2, v22
	ds_bpermute_b32 v22, v22, v20
	ds_read_b32 v20, v21 offset:28
	s_and_saveexec_b64 s[0:1], s[18:19]
	s_cbranch_execz .LBB130_81
; %bb.80:
	v_mov_b32_e32 v23, 0
	v_mov_b32_e32 v21, 2
	s_waitcnt lgkmcnt(0)
	global_store_dwordx2 v23, v[20:21], s[38:39] offset:512 sc1
.LBB130_81:
	s_or_b64 exec, exec, s[0:1]
	v_cmp_eq_u32_e32 vcc, 0, v41
	s_waitcnt lgkmcnt(0)
	s_barrier
	v_cndmask_b32_e32 v1, v22, v1, vcc
	v_cndmask_b32_e64 v38, v1, 0, s[18:19]
	v_add_u32_e32 v36, v38, v31
	v_add_u32_e32 v34, v36, v33
	;; [unrolled: 1-line block ×5, first 2 shown]
	v_mov_b32_e32 v22, 0
	v_add_u32_e32 v26, v28, v40
.LBB130_82:
	s_movk_i32 s0, 0x201
	v_cmp_gt_u32_e32 vcc, s0, v20
	v_lshrrev_b32_e32 v21, 8, v18
	v_lshrrev_b32_e32 v1, 8, v19
	s_mov_b64 s[0:1], -1
	s_cbranch_vccnz .LBB130_86
; %bb.83:
	s_and_b64 vcc, exec, s[0:1]
	s_cbranch_vccnz .LBB130_108
.LBB130_84:
	s_and_b64 s[0:1], s[18:19], s[30:31]
	s_and_saveexec_b64 s[2:3], s[0:1]
	s_cbranch_execnz .LBB130_136
.LBB130_85:
	s_endpgm
.LBB130_86:
	v_add_u32_e32 v23, v22, v20
	v_lshlrev_b64 v[40:41], 3, v[14:15]
	v_cmp_lt_u32_e32 vcc, v38, v23
	v_lshl_add_u64 v[40:41], s[34:35], 0, v[40:41]
	s_or_b64 s[2:3], s[36:37], vcc
	s_and_saveexec_b64 s[0:1], s[2:3]
	s_cbranch_execz .LBB130_89
; %bb.87:
	v_and_b32_e32 v25, 1, v18
	v_cmp_eq_u32_e32 vcc, 1, v25
	s_and_b64 exec, exec, vcc
	s_cbranch_execz .LBB130_89
; %bb.88:
	v_mov_b32_e32 v39, 0
	v_lshl_add_u64 v[42:43], v[38:39], 3, v[40:41]
	global_store_dwordx2 v[42:43], v[10:11], off
.LBB130_89:
	s_or_b64 exec, exec, s[0:1]
	v_cmp_lt_u32_e32 vcc, v36, v23
	s_or_b64 s[2:3], s[36:37], vcc
	s_and_saveexec_b64 s[0:1], s[2:3]
	s_cbranch_execz .LBB130_92
; %bb.90:
	v_and_b32_e32 v25, 1, v21
	v_cmp_eq_u32_e32 vcc, 1, v25
	s_and_b64 exec, exec, vcc
	s_cbranch_execz .LBB130_92
; %bb.91:
	v_mov_b32_e32 v37, 0
	v_lshl_add_u64 v[42:43], v[36:37], 3, v[40:41]
	global_store_dwordx2 v[42:43], v[12:13], off
.LBB130_92:
	s_or_b64 exec, exec, s[0:1]
	v_cmp_lt_u32_e32 vcc, v34, v23
	s_or_b64 s[2:3], s[36:37], vcc
	s_and_saveexec_b64 s[0:1], s[2:3]
	s_cbranch_execz .LBB130_95
; %bb.93:
	v_mov_b32_e32 v25, 1
	v_and_b32_sdwa v25, v25, v18 dst_sel:DWORD dst_unused:UNUSED_PAD src0_sel:DWORD src1_sel:WORD_1
	v_cmp_eq_u32_e32 vcc, 1, v25
	s_and_b64 exec, exec, vcc
	s_cbranch_execz .LBB130_95
; %bb.94:
	v_mov_b32_e32 v35, 0
	v_lshl_add_u64 v[42:43], v[34:35], 3, v[40:41]
	global_store_dwordx2 v[42:43], v[6:7], off
.LBB130_95:
	s_or_b64 exec, exec, s[0:1]
	v_cmp_lt_u32_e32 vcc, v32, v23
	s_or_b64 s[2:3], s[36:37], vcc
	s_and_saveexec_b64 s[0:1], s[2:3]
	s_cbranch_execz .LBB130_98
; %bb.96:
	v_and_b32_e32 v25, 1, v24
	v_cmp_eq_u32_e32 vcc, 1, v25
	s_and_b64 exec, exec, vcc
	s_cbranch_execz .LBB130_98
; %bb.97:
	v_mov_b32_e32 v33, 0
	v_lshl_add_u64 v[42:43], v[32:33], 3, v[40:41]
	global_store_dwordx2 v[42:43], v[8:9], off
.LBB130_98:
	s_or_b64 exec, exec, s[0:1]
	v_cmp_lt_u32_e32 vcc, v30, v23
	s_or_b64 s[2:3], s[36:37], vcc
	s_and_saveexec_b64 s[0:1], s[2:3]
	s_cbranch_execz .LBB130_101
; %bb.99:
	v_and_b32_e32 v25, 1, v19
	v_cmp_eq_u32_e32 vcc, 1, v25
	s_and_b64 exec, exec, vcc
	s_cbranch_execz .LBB130_101
; %bb.100:
	v_mov_b32_e32 v31, 0
	v_lshl_add_u64 v[42:43], v[30:31], 3, v[40:41]
	global_store_dwordx2 v[42:43], v[2:3], off
.LBB130_101:
	;; [unrolled: 15-line block ×3, first 2 shown]
	s_or_b64 exec, exec, s[0:1]
	v_cmp_lt_u32_e32 vcc, v26, v23
	s_or_b64 s[2:3], s[36:37], vcc
	s_and_saveexec_b64 s[0:1], s[2:3]
	s_cbranch_execz .LBB130_107
; %bb.105:
	v_mov_b32_e32 v23, 1
	v_and_b32_sdwa v23, v23, v19 dst_sel:DWORD dst_unused:UNUSED_PAD src0_sel:DWORD src1_sel:WORD_1
	v_cmp_eq_u32_e32 vcc, 1, v23
	s_and_b64 exec, exec, vcc
	s_cbranch_execz .LBB130_107
; %bb.106:
	v_mov_b32_e32 v27, 0
	v_lshl_add_u64 v[40:41], v[26:27], 3, v[40:41]
	global_store_dwordx2 v[40:41], v[16:17], off
.LBB130_107:
	s_or_b64 exec, exec, s[0:1]
	s_branch .LBB130_84
.LBB130_108:
	v_and_b32_e32 v23, 1, v18
	v_cmp_eq_u32_e32 vcc, 1, v23
	s_and_saveexec_b64 s[0:1], vcc
	s_cbranch_execz .LBB130_110
; %bb.109:
	v_sub_u32_e32 v23, v38, v22
	v_lshlrev_b32_e32 v23, 3, v23
	ds_write_b64 v23, v[10:11]
.LBB130_110:
	s_or_b64 exec, exec, s[0:1]
	v_and_b32_e32 v10, 1, v21
	v_cmp_eq_u32_e32 vcc, 1, v10
	s_and_saveexec_b64 s[0:1], vcc
	s_cbranch_execz .LBB130_112
; %bb.111:
	v_sub_u32_e32 v10, v36, v22
	v_lshlrev_b32_e32 v10, 3, v10
	ds_write_b64 v10, v[12:13]
.LBB130_112:
	s_or_b64 exec, exec, s[0:1]
	v_mov_b32_e32 v10, 1
	v_and_b32_sdwa v10, v10, v18 dst_sel:DWORD dst_unused:UNUSED_PAD src0_sel:DWORD src1_sel:WORD_1
	v_cmp_eq_u32_e32 vcc, 1, v10
	s_and_saveexec_b64 s[0:1], vcc
	s_cbranch_execz .LBB130_114
; %bb.113:
	v_sub_u32_e32 v10, v34, v22
	v_lshlrev_b32_e32 v10, 3, v10
	ds_write_b64 v10, v[6:7]
.LBB130_114:
	s_or_b64 exec, exec, s[0:1]
	v_and_b32_e32 v6, 1, v24
	v_cmp_eq_u32_e32 vcc, 1, v6
	s_and_saveexec_b64 s[0:1], vcc
	s_cbranch_execz .LBB130_116
; %bb.115:
	v_sub_u32_e32 v6, v32, v22
	v_lshlrev_b32_e32 v6, 3, v6
	ds_write_b64 v6, v[8:9]
.LBB130_116:
	s_or_b64 exec, exec, s[0:1]
	v_and_b32_e32 v6, 1, v19
	;; [unrolled: 10-line block ×3, first 2 shown]
	v_cmp_eq_u32_e32 vcc, 1, v1
	s_and_saveexec_b64 s[0:1], vcc
	s_cbranch_execz .LBB130_120
; %bb.119:
	v_sub_u32_e32 v1, v28, v22
	v_lshlrev_b32_e32 v1, 3, v1
	ds_write_b64 v1, v[4:5]
.LBB130_120:
	s_or_b64 exec, exec, s[0:1]
	v_mov_b32_e32 v1, 1
	v_and_b32_sdwa v1, v1, v19 dst_sel:DWORD dst_unused:UNUSED_PAD src0_sel:DWORD src1_sel:WORD_1
	v_cmp_eq_u32_e32 vcc, 1, v1
	s_and_saveexec_b64 s[0:1], vcc
	s_cbranch_execz .LBB130_122
; %bb.121:
	v_sub_u32_e32 v1, v26, v22
	v_lshlrev_b32_e32 v1, 3, v1
	ds_write_b64 v1, v[16:17]
.LBB130_122:
	s_or_b64 exec, exec, s[0:1]
	v_cmp_lt_u32_e32 vcc, v0, v20
	s_waitcnt lgkmcnt(0)
	s_barrier
	s_and_saveexec_b64 s[0:1], vcc
	s_cbranch_execz .LBB130_135
; %bb.123:
	v_mov_b32_e32 v23, 0
	v_lshlrev_b64 v[2:3], 3, v[14:15]
	v_lshl_add_u64 v[2:3], s[34:35], 0, v[2:3]
	v_lshlrev_b64 v[4:5], 3, v[22:23]
	v_xad_u32 v1, v0, -1, v20
	s_movk_i32 s2, 0x1ff
	v_lshl_add_u64 v[2:3], v[2:3], 0, v[4:5]
	v_cmp_lt_u32_e32 vcc, s2, v1
	s_mov_b64 s[4:5], -1
	s_and_saveexec_b64 s[2:3], vcc
	s_cbranch_execz .LBB130_132
; %bb.124:
	v_lshrrev_b32_e32 v8, 9, v1
	v_add_u32_e32 v4, -1, v8
	v_or_b32_e32 v1, 0x200, v0
	v_lshrrev_b32_e32 v5, 1, v4
	v_add_u32_e32 v10, 1, v5
	v_cmp_lt_u32_e32 vcc, 13, v4
	v_lshlrev_b32_e32 v9, 3, v0
	v_mov_b64_e32 v[4:5], v[0:1]
	s_and_saveexec_b64 s[4:5], vcc
	s_cbranch_execz .LBB130_128
; %bb.125:
	v_and_b32_e32 v11, -8, v10
	s_mov_b32 s8, 0
	s_mov_b64 s[6:7], 0
	v_mov_b32_e32 v7, 0
	v_mov_b32_e32 v12, v9
	v_mov_b64_e32 v[4:5], v[0:1]
.LBB130_126:                            ; =>This Inner Loop Header: Depth=1
	v_mov_b32_e32 v6, v4
	ds_read2st64_b64 v[16:19], v12 offset1:8
	ds_read2st64_b64 v[32:35], v12 offset0:48 offset1:56
	v_lshl_add_u64 v[66:67], v[6:7], 3, v[2:3]
	v_mov_b32_e32 v6, v5
	ds_read2st64_b64 v[24:27], v12 offset0:16 offset1:24
	ds_read2st64_b64 v[36:39], v12 offset0:64 offset1:72
	v_lshl_add_u64 v[68:69], v[6:7], 3, v[2:3]
	v_add_u32_e32 v6, 0x400, v4
	ds_read2st64_b64 v[40:43], v12 offset0:80 offset1:88
	v_lshl_add_u64 v[70:71], v[6:7], 3, v[2:3]
	v_add_u32_e32 v6, 0x800, v4
	v_add_u32_e32 v52, 0x400, v5
	v_mov_b32_e32 v53, v7
	v_add_u32_e32 v54, 0x800, v5
	v_mov_b32_e32 v55, v7
	ds_read2st64_b64 v[28:31], v12 offset0:32 offset1:40
	ds_read2st64_b64 v[44:47], v12 offset0:96 offset1:104
	v_lshl_add_u64 v[72:73], v[6:7], 3, v[2:3]
	v_add_u32_e32 v6, 0xc00, v4
	v_add_u32_e32 v56, 0xc00, v5
	v_mov_b32_e32 v57, v7
	ds_read2st64_b64 v[48:51], v12 offset0:112 offset1:120
	v_lshl_add_u64 v[52:53], v[52:53], 3, v[2:3]
	v_lshl_add_u64 v[54:55], v[54:55], 3, v[2:3]
	s_waitcnt lgkmcnt(7)
	global_store_dwordx2 v[66:67], v[16:17], off
	global_store_dwordx2 v[68:69], v[18:19], off
	s_waitcnt lgkmcnt(5)
	global_store_dwordx2 v[70:71], v[24:25], off
	global_store_dwordx2 v[52:53], v[26:27], off
	;; [unrolled: 3-line block ×3, first 2 shown]
	v_lshl_add_u64 v[16:17], v[6:7], 3, v[2:3]
	v_add_u32_e32 v6, 0x1000, v4
	v_add_u32_e32 v58, 0x1000, v5
	v_mov_b32_e32 v59, v7
	v_lshl_add_u64 v[56:57], v[56:57], 3, v[2:3]
	global_store_dwordx2 v[16:17], v[32:33], off
	global_store_dwordx2 v[56:57], v[34:35], off
	v_lshl_add_u64 v[16:17], v[6:7], 3, v[2:3]
	v_add_u32_e32 v6, 0x1400, v4
	v_add_u32_e32 v60, 0x1400, v5
	v_mov_b32_e32 v61, v7
	v_add_u32_e32 v11, -8, v11
	v_lshl_add_u64 v[58:59], v[58:59], 3, v[2:3]
	global_store_dwordx2 v[16:17], v[36:37], off
	global_store_dwordx2 v[58:59], v[38:39], off
	v_lshl_add_u64 v[16:17], v[6:7], 3, v[2:3]
	v_add_u32_e32 v6, 0x1800, v4
	v_add_u32_e32 v62, 0x1800, v5
	v_mov_b32_e32 v63, v7
	s_add_i32 s8, s8, 16
	v_lshl_add_u64 v[60:61], v[60:61], 3, v[2:3]
	v_cmp_eq_u32_e32 vcc, 0, v11
	global_store_dwordx2 v[16:17], v[40:41], off
	global_store_dwordx2 v[60:61], v[42:43], off
	v_lshl_add_u64 v[16:17], v[6:7], 3, v[2:3]
	v_add_u32_e32 v6, 0x1c00, v4
	v_add_u32_e32 v64, 0x1c00, v5
	v_mov_b32_e32 v65, v7
	v_add_u32_e32 v12, 0x10000, v12
	v_lshl_add_u64 v[62:63], v[62:63], 3, v[2:3]
	v_add_u32_e32 v5, 0x2000, v5
	v_mov_b32_e32 v23, s8
	s_or_b64 s[6:7], vcc, s[6:7]
	v_add_u32_e32 v4, 0x2000, v4
	s_waitcnt lgkmcnt(1)
	global_store_dwordx2 v[16:17], v[44:45], off
	global_store_dwordx2 v[62:63], v[46:47], off
	v_lshl_add_u64 v[16:17], v[6:7], 3, v[2:3]
	v_lshl_add_u64 v[64:65], v[64:65], 3, v[2:3]
	s_waitcnt lgkmcnt(0)
	global_store_dwordx2 v[16:17], v[48:49], off
	global_store_dwordx2 v[64:65], v[50:51], off
	s_andn2_b64 exec, exec, s[6:7]
	s_cbranch_execnz .LBB130_126
; %bb.127:
	s_or_b64 exec, exec, s[6:7]
.LBB130_128:
	s_or_b64 exec, exec, s[4:5]
	v_and_b32_e32 v1, 7, v10
	v_cmp_ne_u32_e32 vcc, 0, v1
	s_and_saveexec_b64 s[4:5], vcc
	s_cbranch_execz .LBB130_131
; %bb.129:
	v_lshl_or_b32 v9, v23, 12, v9
	s_mov_b64 s[6:7], 0
	v_mov_b32_e32 v7, 0
.LBB130_130:                            ; =>This Inner Loop Header: Depth=1
	ds_read2st64_b64 v[10:13], v9 offset1:8
	v_add_u32_e32 v1, -1, v1
	v_mov_b32_e32 v6, v4
	v_cmp_eq_u32_e32 vcc, 0, v1
	v_add_u32_e32 v4, 0x400, v4
	v_add_u32_e32 v9, 0x2000, v9
	v_lshl_add_u64 v[16:17], v[6:7], 3, v[2:3]
	v_mov_b32_e32 v6, v5
	v_add_u32_e32 v5, 0x400, v5
	s_or_b64 s[6:7], vcc, s[6:7]
	v_lshl_add_u64 v[18:19], v[6:7], 3, v[2:3]
	s_waitcnt lgkmcnt(0)
	global_store_dwordx2 v[16:17], v[10:11], off
	global_store_dwordx2 v[18:19], v[12:13], off
	s_andn2_b64 exec, exec, s[6:7]
	s_cbranch_execnz .LBB130_130
.LBB130_131:
	s_or_b64 exec, exec, s[4:5]
	v_add_u32_e32 v1, 1, v8
	v_and_b32_e32 v4, 0xfffffe, v1
	v_cmp_ne_u32_e32 vcc, v1, v4
	v_lshl_or_b32 v0, v4, 9, v0
	s_orn2_b64 s[4:5], vcc, exec
.LBB130_132:
	s_or_b64 exec, exec, s[2:3]
	s_and_b64 exec, exec, s[4:5]
	s_cbranch_execz .LBB130_135
; %bb.133:
	v_lshlrev_b32_e32 v4, 3, v0
	s_mov_b64 s[2:3], 0
	v_mov_b32_e32 v1, 0
.LBB130_134:                            ; =>This Inner Loop Header: Depth=1
	ds_read_b64 v[8:9], v4
	v_lshl_add_u64 v[6:7], v[0:1], 3, v[2:3]
	v_add_u32_e32 v0, 0x200, v0
	v_cmp_ge_u32_e32 vcc, v0, v20
	v_add_u32_e32 v4, 0x1000, v4
	s_or_b64 s[2:3], vcc, s[2:3]
	s_waitcnt lgkmcnt(0)
	global_store_dwordx2 v[6:7], v[8:9], off
	s_andn2_b64 exec, exec, s[2:3]
	s_cbranch_execnz .LBB130_134
.LBB130_135:
	s_or_b64 exec, exec, s[0:1]
	s_and_b64 s[0:1], s[18:19], s[30:31]
	s_and_saveexec_b64 s[2:3], s[0:1]
	s_cbranch_execz .LBB130_85
.LBB130_136:
	v_mov_b32_e32 v21, 0
	v_lshl_add_u64 v[0:1], v[14:15], 0, v[20:21]
	v_mov_b32_e32 v23, v21
	v_lshl_add_u64 v[0:1], v[0:1], 0, v[22:23]
	global_store_dwordx2 v21, v[0:1], s[28:29]
	s_endpgm
.LBB130_137:
	s_or_b64 exec, exec, s[4:5]
	s_and_saveexec_b64 s[2:3], s[44:45]
	s_cbranch_execnz .LBB130_42
	s_branch .LBB130_43
	.section	.rodata,"a",@progbits
	.p2align	6, 0x0
	.amdhsa_kernel _ZN7rocprim17ROCPRIM_400000_NS6detail17trampoline_kernelINS0_14default_configENS1_25partition_config_selectorILNS1_17partition_subalgoE8EN6thrust23THRUST_200600_302600_NS5tupleIffNS7_9null_typeES9_S9_S9_S9_S9_S9_S9_EENS0_10empty_typeEbEEZZNS1_14partition_implILS5_8ELb0ES3_jNS7_6detail15normal_iteratorINS7_10device_ptrISA_EEEEPSB_PKSB_NS0_5tupleIJSI_SB_EEENSM_IJSJ_SJ_EEENS0_18inequality_wrapperINS7_8equal_toISA_EEEEPmJSB_EEE10hipError_tPvRmT3_T4_T5_T6_T7_T9_mT8_P12ihipStream_tbDpT10_ENKUlT_T0_E_clISt17integral_constantIbLb0EES1C_IbLb1EEEEDaS18_S19_EUlS18_E_NS1_11comp_targetILNS1_3genE5ELNS1_11target_archE942ELNS1_3gpuE9ELNS1_3repE0EEENS1_30default_config_static_selectorELNS0_4arch9wavefront6targetE1EEEvT1_
		.amdhsa_group_segment_fixed_size 28680
		.amdhsa_private_segment_fixed_size 0
		.amdhsa_kernarg_size 128
		.amdhsa_user_sgpr_count 2
		.amdhsa_user_sgpr_dispatch_ptr 0
		.amdhsa_user_sgpr_queue_ptr 0
		.amdhsa_user_sgpr_kernarg_segment_ptr 1
		.amdhsa_user_sgpr_dispatch_id 0
		.amdhsa_user_sgpr_kernarg_preload_length 0
		.amdhsa_user_sgpr_kernarg_preload_offset 0
		.amdhsa_user_sgpr_private_segment_size 0
		.amdhsa_uses_dynamic_stack 0
		.amdhsa_enable_private_segment 0
		.amdhsa_system_sgpr_workgroup_id_x 1
		.amdhsa_system_sgpr_workgroup_id_y 0
		.amdhsa_system_sgpr_workgroup_id_z 0
		.amdhsa_system_sgpr_workgroup_info 0
		.amdhsa_system_vgpr_workitem_id 0
		.amdhsa_next_free_vgpr 74
		.amdhsa_next_free_sgpr 47
		.amdhsa_accum_offset 76
		.amdhsa_reserve_vcc 1
		.amdhsa_float_round_mode_32 0
		.amdhsa_float_round_mode_16_64 0
		.amdhsa_float_denorm_mode_32 3
		.amdhsa_float_denorm_mode_16_64 3
		.amdhsa_dx10_clamp 1
		.amdhsa_ieee_mode 1
		.amdhsa_fp16_overflow 0
		.amdhsa_tg_split 0
		.amdhsa_exception_fp_ieee_invalid_op 0
		.amdhsa_exception_fp_denorm_src 0
		.amdhsa_exception_fp_ieee_div_zero 0
		.amdhsa_exception_fp_ieee_overflow 0
		.amdhsa_exception_fp_ieee_underflow 0
		.amdhsa_exception_fp_ieee_inexact 0
		.amdhsa_exception_int_div_zero 0
	.end_amdhsa_kernel
	.section	.text._ZN7rocprim17ROCPRIM_400000_NS6detail17trampoline_kernelINS0_14default_configENS1_25partition_config_selectorILNS1_17partition_subalgoE8EN6thrust23THRUST_200600_302600_NS5tupleIffNS7_9null_typeES9_S9_S9_S9_S9_S9_S9_EENS0_10empty_typeEbEEZZNS1_14partition_implILS5_8ELb0ES3_jNS7_6detail15normal_iteratorINS7_10device_ptrISA_EEEEPSB_PKSB_NS0_5tupleIJSI_SB_EEENSM_IJSJ_SJ_EEENS0_18inequality_wrapperINS7_8equal_toISA_EEEEPmJSB_EEE10hipError_tPvRmT3_T4_T5_T6_T7_T9_mT8_P12ihipStream_tbDpT10_ENKUlT_T0_E_clISt17integral_constantIbLb0EES1C_IbLb1EEEEDaS18_S19_EUlS18_E_NS1_11comp_targetILNS1_3genE5ELNS1_11target_archE942ELNS1_3gpuE9ELNS1_3repE0EEENS1_30default_config_static_selectorELNS0_4arch9wavefront6targetE1EEEvT1_,"axG",@progbits,_ZN7rocprim17ROCPRIM_400000_NS6detail17trampoline_kernelINS0_14default_configENS1_25partition_config_selectorILNS1_17partition_subalgoE8EN6thrust23THRUST_200600_302600_NS5tupleIffNS7_9null_typeES9_S9_S9_S9_S9_S9_S9_EENS0_10empty_typeEbEEZZNS1_14partition_implILS5_8ELb0ES3_jNS7_6detail15normal_iteratorINS7_10device_ptrISA_EEEEPSB_PKSB_NS0_5tupleIJSI_SB_EEENSM_IJSJ_SJ_EEENS0_18inequality_wrapperINS7_8equal_toISA_EEEEPmJSB_EEE10hipError_tPvRmT3_T4_T5_T6_T7_T9_mT8_P12ihipStream_tbDpT10_ENKUlT_T0_E_clISt17integral_constantIbLb0EES1C_IbLb1EEEEDaS18_S19_EUlS18_E_NS1_11comp_targetILNS1_3genE5ELNS1_11target_archE942ELNS1_3gpuE9ELNS1_3repE0EEENS1_30default_config_static_selectorELNS0_4arch9wavefront6targetE1EEEvT1_,comdat
.Lfunc_end130:
	.size	_ZN7rocprim17ROCPRIM_400000_NS6detail17trampoline_kernelINS0_14default_configENS1_25partition_config_selectorILNS1_17partition_subalgoE8EN6thrust23THRUST_200600_302600_NS5tupleIffNS7_9null_typeES9_S9_S9_S9_S9_S9_S9_EENS0_10empty_typeEbEEZZNS1_14partition_implILS5_8ELb0ES3_jNS7_6detail15normal_iteratorINS7_10device_ptrISA_EEEEPSB_PKSB_NS0_5tupleIJSI_SB_EEENSM_IJSJ_SJ_EEENS0_18inequality_wrapperINS7_8equal_toISA_EEEEPmJSB_EEE10hipError_tPvRmT3_T4_T5_T6_T7_T9_mT8_P12ihipStream_tbDpT10_ENKUlT_T0_E_clISt17integral_constantIbLb0EES1C_IbLb1EEEEDaS18_S19_EUlS18_E_NS1_11comp_targetILNS1_3genE5ELNS1_11target_archE942ELNS1_3gpuE9ELNS1_3repE0EEENS1_30default_config_static_selectorELNS0_4arch9wavefront6targetE1EEEvT1_, .Lfunc_end130-_ZN7rocprim17ROCPRIM_400000_NS6detail17trampoline_kernelINS0_14default_configENS1_25partition_config_selectorILNS1_17partition_subalgoE8EN6thrust23THRUST_200600_302600_NS5tupleIffNS7_9null_typeES9_S9_S9_S9_S9_S9_S9_EENS0_10empty_typeEbEEZZNS1_14partition_implILS5_8ELb0ES3_jNS7_6detail15normal_iteratorINS7_10device_ptrISA_EEEEPSB_PKSB_NS0_5tupleIJSI_SB_EEENSM_IJSJ_SJ_EEENS0_18inequality_wrapperINS7_8equal_toISA_EEEEPmJSB_EEE10hipError_tPvRmT3_T4_T5_T6_T7_T9_mT8_P12ihipStream_tbDpT10_ENKUlT_T0_E_clISt17integral_constantIbLb0EES1C_IbLb1EEEEDaS18_S19_EUlS18_E_NS1_11comp_targetILNS1_3genE5ELNS1_11target_archE942ELNS1_3gpuE9ELNS1_3repE0EEENS1_30default_config_static_selectorELNS0_4arch9wavefront6targetE1EEEvT1_
                                        ; -- End function
	.section	.AMDGPU.csdata,"",@progbits
; Kernel info:
; codeLenInByte = 6680
; NumSgprs: 53
; NumVgprs: 74
; NumAgprs: 0
; TotalNumVgprs: 74
; ScratchSize: 0
; MemoryBound: 0
; FloatMode: 240
; IeeeMode: 1
; LDSByteSize: 28680 bytes/workgroup (compile time only)
; SGPRBlocks: 6
; VGPRBlocks: 9
; NumSGPRsForWavesPerEU: 53
; NumVGPRsForWavesPerEU: 74
; AccumOffset: 76
; Occupancy: 4
; WaveLimiterHint : 1
; COMPUTE_PGM_RSRC2:SCRATCH_EN: 0
; COMPUTE_PGM_RSRC2:USER_SGPR: 2
; COMPUTE_PGM_RSRC2:TRAP_HANDLER: 0
; COMPUTE_PGM_RSRC2:TGID_X_EN: 1
; COMPUTE_PGM_RSRC2:TGID_Y_EN: 0
; COMPUTE_PGM_RSRC2:TGID_Z_EN: 0
; COMPUTE_PGM_RSRC2:TIDIG_COMP_CNT: 0
; COMPUTE_PGM_RSRC3_GFX90A:ACCUM_OFFSET: 18
; COMPUTE_PGM_RSRC3_GFX90A:TG_SPLIT: 0
	.section	.text._ZN7rocprim17ROCPRIM_400000_NS6detail17trampoline_kernelINS0_14default_configENS1_25partition_config_selectorILNS1_17partition_subalgoE8EN6thrust23THRUST_200600_302600_NS5tupleIffNS7_9null_typeES9_S9_S9_S9_S9_S9_S9_EENS0_10empty_typeEbEEZZNS1_14partition_implILS5_8ELb0ES3_jNS7_6detail15normal_iteratorINS7_10device_ptrISA_EEEEPSB_PKSB_NS0_5tupleIJSI_SB_EEENSM_IJSJ_SJ_EEENS0_18inequality_wrapperINS7_8equal_toISA_EEEEPmJSB_EEE10hipError_tPvRmT3_T4_T5_T6_T7_T9_mT8_P12ihipStream_tbDpT10_ENKUlT_T0_E_clISt17integral_constantIbLb0EES1C_IbLb1EEEEDaS18_S19_EUlS18_E_NS1_11comp_targetILNS1_3genE4ELNS1_11target_archE910ELNS1_3gpuE8ELNS1_3repE0EEENS1_30default_config_static_selectorELNS0_4arch9wavefront6targetE1EEEvT1_,"axG",@progbits,_ZN7rocprim17ROCPRIM_400000_NS6detail17trampoline_kernelINS0_14default_configENS1_25partition_config_selectorILNS1_17partition_subalgoE8EN6thrust23THRUST_200600_302600_NS5tupleIffNS7_9null_typeES9_S9_S9_S9_S9_S9_S9_EENS0_10empty_typeEbEEZZNS1_14partition_implILS5_8ELb0ES3_jNS7_6detail15normal_iteratorINS7_10device_ptrISA_EEEEPSB_PKSB_NS0_5tupleIJSI_SB_EEENSM_IJSJ_SJ_EEENS0_18inequality_wrapperINS7_8equal_toISA_EEEEPmJSB_EEE10hipError_tPvRmT3_T4_T5_T6_T7_T9_mT8_P12ihipStream_tbDpT10_ENKUlT_T0_E_clISt17integral_constantIbLb0EES1C_IbLb1EEEEDaS18_S19_EUlS18_E_NS1_11comp_targetILNS1_3genE4ELNS1_11target_archE910ELNS1_3gpuE8ELNS1_3repE0EEENS1_30default_config_static_selectorELNS0_4arch9wavefront6targetE1EEEvT1_,comdat
	.protected	_ZN7rocprim17ROCPRIM_400000_NS6detail17trampoline_kernelINS0_14default_configENS1_25partition_config_selectorILNS1_17partition_subalgoE8EN6thrust23THRUST_200600_302600_NS5tupleIffNS7_9null_typeES9_S9_S9_S9_S9_S9_S9_EENS0_10empty_typeEbEEZZNS1_14partition_implILS5_8ELb0ES3_jNS7_6detail15normal_iteratorINS7_10device_ptrISA_EEEEPSB_PKSB_NS0_5tupleIJSI_SB_EEENSM_IJSJ_SJ_EEENS0_18inequality_wrapperINS7_8equal_toISA_EEEEPmJSB_EEE10hipError_tPvRmT3_T4_T5_T6_T7_T9_mT8_P12ihipStream_tbDpT10_ENKUlT_T0_E_clISt17integral_constantIbLb0EES1C_IbLb1EEEEDaS18_S19_EUlS18_E_NS1_11comp_targetILNS1_3genE4ELNS1_11target_archE910ELNS1_3gpuE8ELNS1_3repE0EEENS1_30default_config_static_selectorELNS0_4arch9wavefront6targetE1EEEvT1_ ; -- Begin function _ZN7rocprim17ROCPRIM_400000_NS6detail17trampoline_kernelINS0_14default_configENS1_25partition_config_selectorILNS1_17partition_subalgoE8EN6thrust23THRUST_200600_302600_NS5tupleIffNS7_9null_typeES9_S9_S9_S9_S9_S9_S9_EENS0_10empty_typeEbEEZZNS1_14partition_implILS5_8ELb0ES3_jNS7_6detail15normal_iteratorINS7_10device_ptrISA_EEEEPSB_PKSB_NS0_5tupleIJSI_SB_EEENSM_IJSJ_SJ_EEENS0_18inequality_wrapperINS7_8equal_toISA_EEEEPmJSB_EEE10hipError_tPvRmT3_T4_T5_T6_T7_T9_mT8_P12ihipStream_tbDpT10_ENKUlT_T0_E_clISt17integral_constantIbLb0EES1C_IbLb1EEEEDaS18_S19_EUlS18_E_NS1_11comp_targetILNS1_3genE4ELNS1_11target_archE910ELNS1_3gpuE8ELNS1_3repE0EEENS1_30default_config_static_selectorELNS0_4arch9wavefront6targetE1EEEvT1_
	.globl	_ZN7rocprim17ROCPRIM_400000_NS6detail17trampoline_kernelINS0_14default_configENS1_25partition_config_selectorILNS1_17partition_subalgoE8EN6thrust23THRUST_200600_302600_NS5tupleIffNS7_9null_typeES9_S9_S9_S9_S9_S9_S9_EENS0_10empty_typeEbEEZZNS1_14partition_implILS5_8ELb0ES3_jNS7_6detail15normal_iteratorINS7_10device_ptrISA_EEEEPSB_PKSB_NS0_5tupleIJSI_SB_EEENSM_IJSJ_SJ_EEENS0_18inequality_wrapperINS7_8equal_toISA_EEEEPmJSB_EEE10hipError_tPvRmT3_T4_T5_T6_T7_T9_mT8_P12ihipStream_tbDpT10_ENKUlT_T0_E_clISt17integral_constantIbLb0EES1C_IbLb1EEEEDaS18_S19_EUlS18_E_NS1_11comp_targetILNS1_3genE4ELNS1_11target_archE910ELNS1_3gpuE8ELNS1_3repE0EEENS1_30default_config_static_selectorELNS0_4arch9wavefront6targetE1EEEvT1_
	.p2align	8
	.type	_ZN7rocprim17ROCPRIM_400000_NS6detail17trampoline_kernelINS0_14default_configENS1_25partition_config_selectorILNS1_17partition_subalgoE8EN6thrust23THRUST_200600_302600_NS5tupleIffNS7_9null_typeES9_S9_S9_S9_S9_S9_S9_EENS0_10empty_typeEbEEZZNS1_14partition_implILS5_8ELb0ES3_jNS7_6detail15normal_iteratorINS7_10device_ptrISA_EEEEPSB_PKSB_NS0_5tupleIJSI_SB_EEENSM_IJSJ_SJ_EEENS0_18inequality_wrapperINS7_8equal_toISA_EEEEPmJSB_EEE10hipError_tPvRmT3_T4_T5_T6_T7_T9_mT8_P12ihipStream_tbDpT10_ENKUlT_T0_E_clISt17integral_constantIbLb0EES1C_IbLb1EEEEDaS18_S19_EUlS18_E_NS1_11comp_targetILNS1_3genE4ELNS1_11target_archE910ELNS1_3gpuE8ELNS1_3repE0EEENS1_30default_config_static_selectorELNS0_4arch9wavefront6targetE1EEEvT1_,@function
_ZN7rocprim17ROCPRIM_400000_NS6detail17trampoline_kernelINS0_14default_configENS1_25partition_config_selectorILNS1_17partition_subalgoE8EN6thrust23THRUST_200600_302600_NS5tupleIffNS7_9null_typeES9_S9_S9_S9_S9_S9_S9_EENS0_10empty_typeEbEEZZNS1_14partition_implILS5_8ELb0ES3_jNS7_6detail15normal_iteratorINS7_10device_ptrISA_EEEEPSB_PKSB_NS0_5tupleIJSI_SB_EEENSM_IJSJ_SJ_EEENS0_18inequality_wrapperINS7_8equal_toISA_EEEEPmJSB_EEE10hipError_tPvRmT3_T4_T5_T6_T7_T9_mT8_P12ihipStream_tbDpT10_ENKUlT_T0_E_clISt17integral_constantIbLb0EES1C_IbLb1EEEEDaS18_S19_EUlS18_E_NS1_11comp_targetILNS1_3genE4ELNS1_11target_archE910ELNS1_3gpuE8ELNS1_3repE0EEENS1_30default_config_static_selectorELNS0_4arch9wavefront6targetE1EEEvT1_: ; @_ZN7rocprim17ROCPRIM_400000_NS6detail17trampoline_kernelINS0_14default_configENS1_25partition_config_selectorILNS1_17partition_subalgoE8EN6thrust23THRUST_200600_302600_NS5tupleIffNS7_9null_typeES9_S9_S9_S9_S9_S9_S9_EENS0_10empty_typeEbEEZZNS1_14partition_implILS5_8ELb0ES3_jNS7_6detail15normal_iteratorINS7_10device_ptrISA_EEEEPSB_PKSB_NS0_5tupleIJSI_SB_EEENSM_IJSJ_SJ_EEENS0_18inequality_wrapperINS7_8equal_toISA_EEEEPmJSB_EEE10hipError_tPvRmT3_T4_T5_T6_T7_T9_mT8_P12ihipStream_tbDpT10_ENKUlT_T0_E_clISt17integral_constantIbLb0EES1C_IbLb1EEEEDaS18_S19_EUlS18_E_NS1_11comp_targetILNS1_3genE4ELNS1_11target_archE910ELNS1_3gpuE8ELNS1_3repE0EEENS1_30default_config_static_selectorELNS0_4arch9wavefront6targetE1EEEvT1_
; %bb.0:
	.section	.rodata,"a",@progbits
	.p2align	6, 0x0
	.amdhsa_kernel _ZN7rocprim17ROCPRIM_400000_NS6detail17trampoline_kernelINS0_14default_configENS1_25partition_config_selectorILNS1_17partition_subalgoE8EN6thrust23THRUST_200600_302600_NS5tupleIffNS7_9null_typeES9_S9_S9_S9_S9_S9_S9_EENS0_10empty_typeEbEEZZNS1_14partition_implILS5_8ELb0ES3_jNS7_6detail15normal_iteratorINS7_10device_ptrISA_EEEEPSB_PKSB_NS0_5tupleIJSI_SB_EEENSM_IJSJ_SJ_EEENS0_18inequality_wrapperINS7_8equal_toISA_EEEEPmJSB_EEE10hipError_tPvRmT3_T4_T5_T6_T7_T9_mT8_P12ihipStream_tbDpT10_ENKUlT_T0_E_clISt17integral_constantIbLb0EES1C_IbLb1EEEEDaS18_S19_EUlS18_E_NS1_11comp_targetILNS1_3genE4ELNS1_11target_archE910ELNS1_3gpuE8ELNS1_3repE0EEENS1_30default_config_static_selectorELNS0_4arch9wavefront6targetE1EEEvT1_
		.amdhsa_group_segment_fixed_size 0
		.amdhsa_private_segment_fixed_size 0
		.amdhsa_kernarg_size 128
		.amdhsa_user_sgpr_count 2
		.amdhsa_user_sgpr_dispatch_ptr 0
		.amdhsa_user_sgpr_queue_ptr 0
		.amdhsa_user_sgpr_kernarg_segment_ptr 1
		.amdhsa_user_sgpr_dispatch_id 0
		.amdhsa_user_sgpr_kernarg_preload_length 0
		.amdhsa_user_sgpr_kernarg_preload_offset 0
		.amdhsa_user_sgpr_private_segment_size 0
		.amdhsa_uses_dynamic_stack 0
		.amdhsa_enable_private_segment 0
		.amdhsa_system_sgpr_workgroup_id_x 1
		.amdhsa_system_sgpr_workgroup_id_y 0
		.amdhsa_system_sgpr_workgroup_id_z 0
		.amdhsa_system_sgpr_workgroup_info 0
		.amdhsa_system_vgpr_workitem_id 0
		.amdhsa_next_free_vgpr 1
		.amdhsa_next_free_sgpr 0
		.amdhsa_accum_offset 4
		.amdhsa_reserve_vcc 0
		.amdhsa_float_round_mode_32 0
		.amdhsa_float_round_mode_16_64 0
		.amdhsa_float_denorm_mode_32 3
		.amdhsa_float_denorm_mode_16_64 3
		.amdhsa_dx10_clamp 1
		.amdhsa_ieee_mode 1
		.amdhsa_fp16_overflow 0
		.amdhsa_tg_split 0
		.amdhsa_exception_fp_ieee_invalid_op 0
		.amdhsa_exception_fp_denorm_src 0
		.amdhsa_exception_fp_ieee_div_zero 0
		.amdhsa_exception_fp_ieee_overflow 0
		.amdhsa_exception_fp_ieee_underflow 0
		.amdhsa_exception_fp_ieee_inexact 0
		.amdhsa_exception_int_div_zero 0
	.end_amdhsa_kernel
	.section	.text._ZN7rocprim17ROCPRIM_400000_NS6detail17trampoline_kernelINS0_14default_configENS1_25partition_config_selectorILNS1_17partition_subalgoE8EN6thrust23THRUST_200600_302600_NS5tupleIffNS7_9null_typeES9_S9_S9_S9_S9_S9_S9_EENS0_10empty_typeEbEEZZNS1_14partition_implILS5_8ELb0ES3_jNS7_6detail15normal_iteratorINS7_10device_ptrISA_EEEEPSB_PKSB_NS0_5tupleIJSI_SB_EEENSM_IJSJ_SJ_EEENS0_18inequality_wrapperINS7_8equal_toISA_EEEEPmJSB_EEE10hipError_tPvRmT3_T4_T5_T6_T7_T9_mT8_P12ihipStream_tbDpT10_ENKUlT_T0_E_clISt17integral_constantIbLb0EES1C_IbLb1EEEEDaS18_S19_EUlS18_E_NS1_11comp_targetILNS1_3genE4ELNS1_11target_archE910ELNS1_3gpuE8ELNS1_3repE0EEENS1_30default_config_static_selectorELNS0_4arch9wavefront6targetE1EEEvT1_,"axG",@progbits,_ZN7rocprim17ROCPRIM_400000_NS6detail17trampoline_kernelINS0_14default_configENS1_25partition_config_selectorILNS1_17partition_subalgoE8EN6thrust23THRUST_200600_302600_NS5tupleIffNS7_9null_typeES9_S9_S9_S9_S9_S9_S9_EENS0_10empty_typeEbEEZZNS1_14partition_implILS5_8ELb0ES3_jNS7_6detail15normal_iteratorINS7_10device_ptrISA_EEEEPSB_PKSB_NS0_5tupleIJSI_SB_EEENSM_IJSJ_SJ_EEENS0_18inequality_wrapperINS7_8equal_toISA_EEEEPmJSB_EEE10hipError_tPvRmT3_T4_T5_T6_T7_T9_mT8_P12ihipStream_tbDpT10_ENKUlT_T0_E_clISt17integral_constantIbLb0EES1C_IbLb1EEEEDaS18_S19_EUlS18_E_NS1_11comp_targetILNS1_3genE4ELNS1_11target_archE910ELNS1_3gpuE8ELNS1_3repE0EEENS1_30default_config_static_selectorELNS0_4arch9wavefront6targetE1EEEvT1_,comdat
.Lfunc_end131:
	.size	_ZN7rocprim17ROCPRIM_400000_NS6detail17trampoline_kernelINS0_14default_configENS1_25partition_config_selectorILNS1_17partition_subalgoE8EN6thrust23THRUST_200600_302600_NS5tupleIffNS7_9null_typeES9_S9_S9_S9_S9_S9_S9_EENS0_10empty_typeEbEEZZNS1_14partition_implILS5_8ELb0ES3_jNS7_6detail15normal_iteratorINS7_10device_ptrISA_EEEEPSB_PKSB_NS0_5tupleIJSI_SB_EEENSM_IJSJ_SJ_EEENS0_18inequality_wrapperINS7_8equal_toISA_EEEEPmJSB_EEE10hipError_tPvRmT3_T4_T5_T6_T7_T9_mT8_P12ihipStream_tbDpT10_ENKUlT_T0_E_clISt17integral_constantIbLb0EES1C_IbLb1EEEEDaS18_S19_EUlS18_E_NS1_11comp_targetILNS1_3genE4ELNS1_11target_archE910ELNS1_3gpuE8ELNS1_3repE0EEENS1_30default_config_static_selectorELNS0_4arch9wavefront6targetE1EEEvT1_, .Lfunc_end131-_ZN7rocprim17ROCPRIM_400000_NS6detail17trampoline_kernelINS0_14default_configENS1_25partition_config_selectorILNS1_17partition_subalgoE8EN6thrust23THRUST_200600_302600_NS5tupleIffNS7_9null_typeES9_S9_S9_S9_S9_S9_S9_EENS0_10empty_typeEbEEZZNS1_14partition_implILS5_8ELb0ES3_jNS7_6detail15normal_iteratorINS7_10device_ptrISA_EEEEPSB_PKSB_NS0_5tupleIJSI_SB_EEENSM_IJSJ_SJ_EEENS0_18inequality_wrapperINS7_8equal_toISA_EEEEPmJSB_EEE10hipError_tPvRmT3_T4_T5_T6_T7_T9_mT8_P12ihipStream_tbDpT10_ENKUlT_T0_E_clISt17integral_constantIbLb0EES1C_IbLb1EEEEDaS18_S19_EUlS18_E_NS1_11comp_targetILNS1_3genE4ELNS1_11target_archE910ELNS1_3gpuE8ELNS1_3repE0EEENS1_30default_config_static_selectorELNS0_4arch9wavefront6targetE1EEEvT1_
                                        ; -- End function
	.section	.AMDGPU.csdata,"",@progbits
; Kernel info:
; codeLenInByte = 0
; NumSgprs: 6
; NumVgprs: 0
; NumAgprs: 0
; TotalNumVgprs: 0
; ScratchSize: 0
; MemoryBound: 0
; FloatMode: 240
; IeeeMode: 1
; LDSByteSize: 0 bytes/workgroup (compile time only)
; SGPRBlocks: 0
; VGPRBlocks: 0
; NumSGPRsForWavesPerEU: 6
; NumVGPRsForWavesPerEU: 1
; AccumOffset: 4
; Occupancy: 8
; WaveLimiterHint : 0
; COMPUTE_PGM_RSRC2:SCRATCH_EN: 0
; COMPUTE_PGM_RSRC2:USER_SGPR: 2
; COMPUTE_PGM_RSRC2:TRAP_HANDLER: 0
; COMPUTE_PGM_RSRC2:TGID_X_EN: 1
; COMPUTE_PGM_RSRC2:TGID_Y_EN: 0
; COMPUTE_PGM_RSRC2:TGID_Z_EN: 0
; COMPUTE_PGM_RSRC2:TIDIG_COMP_CNT: 0
; COMPUTE_PGM_RSRC3_GFX90A:ACCUM_OFFSET: 0
; COMPUTE_PGM_RSRC3_GFX90A:TG_SPLIT: 0
	.section	.text._ZN7rocprim17ROCPRIM_400000_NS6detail17trampoline_kernelINS0_14default_configENS1_25partition_config_selectorILNS1_17partition_subalgoE8EN6thrust23THRUST_200600_302600_NS5tupleIffNS7_9null_typeES9_S9_S9_S9_S9_S9_S9_EENS0_10empty_typeEbEEZZNS1_14partition_implILS5_8ELb0ES3_jNS7_6detail15normal_iteratorINS7_10device_ptrISA_EEEEPSB_PKSB_NS0_5tupleIJSI_SB_EEENSM_IJSJ_SJ_EEENS0_18inequality_wrapperINS7_8equal_toISA_EEEEPmJSB_EEE10hipError_tPvRmT3_T4_T5_T6_T7_T9_mT8_P12ihipStream_tbDpT10_ENKUlT_T0_E_clISt17integral_constantIbLb0EES1C_IbLb1EEEEDaS18_S19_EUlS18_E_NS1_11comp_targetILNS1_3genE3ELNS1_11target_archE908ELNS1_3gpuE7ELNS1_3repE0EEENS1_30default_config_static_selectorELNS0_4arch9wavefront6targetE1EEEvT1_,"axG",@progbits,_ZN7rocprim17ROCPRIM_400000_NS6detail17trampoline_kernelINS0_14default_configENS1_25partition_config_selectorILNS1_17partition_subalgoE8EN6thrust23THRUST_200600_302600_NS5tupleIffNS7_9null_typeES9_S9_S9_S9_S9_S9_S9_EENS0_10empty_typeEbEEZZNS1_14partition_implILS5_8ELb0ES3_jNS7_6detail15normal_iteratorINS7_10device_ptrISA_EEEEPSB_PKSB_NS0_5tupleIJSI_SB_EEENSM_IJSJ_SJ_EEENS0_18inequality_wrapperINS7_8equal_toISA_EEEEPmJSB_EEE10hipError_tPvRmT3_T4_T5_T6_T7_T9_mT8_P12ihipStream_tbDpT10_ENKUlT_T0_E_clISt17integral_constantIbLb0EES1C_IbLb1EEEEDaS18_S19_EUlS18_E_NS1_11comp_targetILNS1_3genE3ELNS1_11target_archE908ELNS1_3gpuE7ELNS1_3repE0EEENS1_30default_config_static_selectorELNS0_4arch9wavefront6targetE1EEEvT1_,comdat
	.protected	_ZN7rocprim17ROCPRIM_400000_NS6detail17trampoline_kernelINS0_14default_configENS1_25partition_config_selectorILNS1_17partition_subalgoE8EN6thrust23THRUST_200600_302600_NS5tupleIffNS7_9null_typeES9_S9_S9_S9_S9_S9_S9_EENS0_10empty_typeEbEEZZNS1_14partition_implILS5_8ELb0ES3_jNS7_6detail15normal_iteratorINS7_10device_ptrISA_EEEEPSB_PKSB_NS0_5tupleIJSI_SB_EEENSM_IJSJ_SJ_EEENS0_18inequality_wrapperINS7_8equal_toISA_EEEEPmJSB_EEE10hipError_tPvRmT3_T4_T5_T6_T7_T9_mT8_P12ihipStream_tbDpT10_ENKUlT_T0_E_clISt17integral_constantIbLb0EES1C_IbLb1EEEEDaS18_S19_EUlS18_E_NS1_11comp_targetILNS1_3genE3ELNS1_11target_archE908ELNS1_3gpuE7ELNS1_3repE0EEENS1_30default_config_static_selectorELNS0_4arch9wavefront6targetE1EEEvT1_ ; -- Begin function _ZN7rocprim17ROCPRIM_400000_NS6detail17trampoline_kernelINS0_14default_configENS1_25partition_config_selectorILNS1_17partition_subalgoE8EN6thrust23THRUST_200600_302600_NS5tupleIffNS7_9null_typeES9_S9_S9_S9_S9_S9_S9_EENS0_10empty_typeEbEEZZNS1_14partition_implILS5_8ELb0ES3_jNS7_6detail15normal_iteratorINS7_10device_ptrISA_EEEEPSB_PKSB_NS0_5tupleIJSI_SB_EEENSM_IJSJ_SJ_EEENS0_18inequality_wrapperINS7_8equal_toISA_EEEEPmJSB_EEE10hipError_tPvRmT3_T4_T5_T6_T7_T9_mT8_P12ihipStream_tbDpT10_ENKUlT_T0_E_clISt17integral_constantIbLb0EES1C_IbLb1EEEEDaS18_S19_EUlS18_E_NS1_11comp_targetILNS1_3genE3ELNS1_11target_archE908ELNS1_3gpuE7ELNS1_3repE0EEENS1_30default_config_static_selectorELNS0_4arch9wavefront6targetE1EEEvT1_
	.globl	_ZN7rocprim17ROCPRIM_400000_NS6detail17trampoline_kernelINS0_14default_configENS1_25partition_config_selectorILNS1_17partition_subalgoE8EN6thrust23THRUST_200600_302600_NS5tupleIffNS7_9null_typeES9_S9_S9_S9_S9_S9_S9_EENS0_10empty_typeEbEEZZNS1_14partition_implILS5_8ELb0ES3_jNS7_6detail15normal_iteratorINS7_10device_ptrISA_EEEEPSB_PKSB_NS0_5tupleIJSI_SB_EEENSM_IJSJ_SJ_EEENS0_18inequality_wrapperINS7_8equal_toISA_EEEEPmJSB_EEE10hipError_tPvRmT3_T4_T5_T6_T7_T9_mT8_P12ihipStream_tbDpT10_ENKUlT_T0_E_clISt17integral_constantIbLb0EES1C_IbLb1EEEEDaS18_S19_EUlS18_E_NS1_11comp_targetILNS1_3genE3ELNS1_11target_archE908ELNS1_3gpuE7ELNS1_3repE0EEENS1_30default_config_static_selectorELNS0_4arch9wavefront6targetE1EEEvT1_
	.p2align	8
	.type	_ZN7rocprim17ROCPRIM_400000_NS6detail17trampoline_kernelINS0_14default_configENS1_25partition_config_selectorILNS1_17partition_subalgoE8EN6thrust23THRUST_200600_302600_NS5tupleIffNS7_9null_typeES9_S9_S9_S9_S9_S9_S9_EENS0_10empty_typeEbEEZZNS1_14partition_implILS5_8ELb0ES3_jNS7_6detail15normal_iteratorINS7_10device_ptrISA_EEEEPSB_PKSB_NS0_5tupleIJSI_SB_EEENSM_IJSJ_SJ_EEENS0_18inequality_wrapperINS7_8equal_toISA_EEEEPmJSB_EEE10hipError_tPvRmT3_T4_T5_T6_T7_T9_mT8_P12ihipStream_tbDpT10_ENKUlT_T0_E_clISt17integral_constantIbLb0EES1C_IbLb1EEEEDaS18_S19_EUlS18_E_NS1_11comp_targetILNS1_3genE3ELNS1_11target_archE908ELNS1_3gpuE7ELNS1_3repE0EEENS1_30default_config_static_selectorELNS0_4arch9wavefront6targetE1EEEvT1_,@function
_ZN7rocprim17ROCPRIM_400000_NS6detail17trampoline_kernelINS0_14default_configENS1_25partition_config_selectorILNS1_17partition_subalgoE8EN6thrust23THRUST_200600_302600_NS5tupleIffNS7_9null_typeES9_S9_S9_S9_S9_S9_S9_EENS0_10empty_typeEbEEZZNS1_14partition_implILS5_8ELb0ES3_jNS7_6detail15normal_iteratorINS7_10device_ptrISA_EEEEPSB_PKSB_NS0_5tupleIJSI_SB_EEENSM_IJSJ_SJ_EEENS0_18inequality_wrapperINS7_8equal_toISA_EEEEPmJSB_EEE10hipError_tPvRmT3_T4_T5_T6_T7_T9_mT8_P12ihipStream_tbDpT10_ENKUlT_T0_E_clISt17integral_constantIbLb0EES1C_IbLb1EEEEDaS18_S19_EUlS18_E_NS1_11comp_targetILNS1_3genE3ELNS1_11target_archE908ELNS1_3gpuE7ELNS1_3repE0EEENS1_30default_config_static_selectorELNS0_4arch9wavefront6targetE1EEEvT1_: ; @_ZN7rocprim17ROCPRIM_400000_NS6detail17trampoline_kernelINS0_14default_configENS1_25partition_config_selectorILNS1_17partition_subalgoE8EN6thrust23THRUST_200600_302600_NS5tupleIffNS7_9null_typeES9_S9_S9_S9_S9_S9_S9_EENS0_10empty_typeEbEEZZNS1_14partition_implILS5_8ELb0ES3_jNS7_6detail15normal_iteratorINS7_10device_ptrISA_EEEEPSB_PKSB_NS0_5tupleIJSI_SB_EEENSM_IJSJ_SJ_EEENS0_18inequality_wrapperINS7_8equal_toISA_EEEEPmJSB_EEE10hipError_tPvRmT3_T4_T5_T6_T7_T9_mT8_P12ihipStream_tbDpT10_ENKUlT_T0_E_clISt17integral_constantIbLb0EES1C_IbLb1EEEEDaS18_S19_EUlS18_E_NS1_11comp_targetILNS1_3genE3ELNS1_11target_archE908ELNS1_3gpuE7ELNS1_3repE0EEENS1_30default_config_static_selectorELNS0_4arch9wavefront6targetE1EEEvT1_
; %bb.0:
	.section	.rodata,"a",@progbits
	.p2align	6, 0x0
	.amdhsa_kernel _ZN7rocprim17ROCPRIM_400000_NS6detail17trampoline_kernelINS0_14default_configENS1_25partition_config_selectorILNS1_17partition_subalgoE8EN6thrust23THRUST_200600_302600_NS5tupleIffNS7_9null_typeES9_S9_S9_S9_S9_S9_S9_EENS0_10empty_typeEbEEZZNS1_14partition_implILS5_8ELb0ES3_jNS7_6detail15normal_iteratorINS7_10device_ptrISA_EEEEPSB_PKSB_NS0_5tupleIJSI_SB_EEENSM_IJSJ_SJ_EEENS0_18inequality_wrapperINS7_8equal_toISA_EEEEPmJSB_EEE10hipError_tPvRmT3_T4_T5_T6_T7_T9_mT8_P12ihipStream_tbDpT10_ENKUlT_T0_E_clISt17integral_constantIbLb0EES1C_IbLb1EEEEDaS18_S19_EUlS18_E_NS1_11comp_targetILNS1_3genE3ELNS1_11target_archE908ELNS1_3gpuE7ELNS1_3repE0EEENS1_30default_config_static_selectorELNS0_4arch9wavefront6targetE1EEEvT1_
		.amdhsa_group_segment_fixed_size 0
		.amdhsa_private_segment_fixed_size 0
		.amdhsa_kernarg_size 128
		.amdhsa_user_sgpr_count 2
		.amdhsa_user_sgpr_dispatch_ptr 0
		.amdhsa_user_sgpr_queue_ptr 0
		.amdhsa_user_sgpr_kernarg_segment_ptr 1
		.amdhsa_user_sgpr_dispatch_id 0
		.amdhsa_user_sgpr_kernarg_preload_length 0
		.amdhsa_user_sgpr_kernarg_preload_offset 0
		.amdhsa_user_sgpr_private_segment_size 0
		.amdhsa_uses_dynamic_stack 0
		.amdhsa_enable_private_segment 0
		.amdhsa_system_sgpr_workgroup_id_x 1
		.amdhsa_system_sgpr_workgroup_id_y 0
		.amdhsa_system_sgpr_workgroup_id_z 0
		.amdhsa_system_sgpr_workgroup_info 0
		.amdhsa_system_vgpr_workitem_id 0
		.amdhsa_next_free_vgpr 1
		.amdhsa_next_free_sgpr 0
		.amdhsa_accum_offset 4
		.amdhsa_reserve_vcc 0
		.amdhsa_float_round_mode_32 0
		.amdhsa_float_round_mode_16_64 0
		.amdhsa_float_denorm_mode_32 3
		.amdhsa_float_denorm_mode_16_64 3
		.amdhsa_dx10_clamp 1
		.amdhsa_ieee_mode 1
		.amdhsa_fp16_overflow 0
		.amdhsa_tg_split 0
		.amdhsa_exception_fp_ieee_invalid_op 0
		.amdhsa_exception_fp_denorm_src 0
		.amdhsa_exception_fp_ieee_div_zero 0
		.amdhsa_exception_fp_ieee_overflow 0
		.amdhsa_exception_fp_ieee_underflow 0
		.amdhsa_exception_fp_ieee_inexact 0
		.amdhsa_exception_int_div_zero 0
	.end_amdhsa_kernel
	.section	.text._ZN7rocprim17ROCPRIM_400000_NS6detail17trampoline_kernelINS0_14default_configENS1_25partition_config_selectorILNS1_17partition_subalgoE8EN6thrust23THRUST_200600_302600_NS5tupleIffNS7_9null_typeES9_S9_S9_S9_S9_S9_S9_EENS0_10empty_typeEbEEZZNS1_14partition_implILS5_8ELb0ES3_jNS7_6detail15normal_iteratorINS7_10device_ptrISA_EEEEPSB_PKSB_NS0_5tupleIJSI_SB_EEENSM_IJSJ_SJ_EEENS0_18inequality_wrapperINS7_8equal_toISA_EEEEPmJSB_EEE10hipError_tPvRmT3_T4_T5_T6_T7_T9_mT8_P12ihipStream_tbDpT10_ENKUlT_T0_E_clISt17integral_constantIbLb0EES1C_IbLb1EEEEDaS18_S19_EUlS18_E_NS1_11comp_targetILNS1_3genE3ELNS1_11target_archE908ELNS1_3gpuE7ELNS1_3repE0EEENS1_30default_config_static_selectorELNS0_4arch9wavefront6targetE1EEEvT1_,"axG",@progbits,_ZN7rocprim17ROCPRIM_400000_NS6detail17trampoline_kernelINS0_14default_configENS1_25partition_config_selectorILNS1_17partition_subalgoE8EN6thrust23THRUST_200600_302600_NS5tupleIffNS7_9null_typeES9_S9_S9_S9_S9_S9_S9_EENS0_10empty_typeEbEEZZNS1_14partition_implILS5_8ELb0ES3_jNS7_6detail15normal_iteratorINS7_10device_ptrISA_EEEEPSB_PKSB_NS0_5tupleIJSI_SB_EEENSM_IJSJ_SJ_EEENS0_18inequality_wrapperINS7_8equal_toISA_EEEEPmJSB_EEE10hipError_tPvRmT3_T4_T5_T6_T7_T9_mT8_P12ihipStream_tbDpT10_ENKUlT_T0_E_clISt17integral_constantIbLb0EES1C_IbLb1EEEEDaS18_S19_EUlS18_E_NS1_11comp_targetILNS1_3genE3ELNS1_11target_archE908ELNS1_3gpuE7ELNS1_3repE0EEENS1_30default_config_static_selectorELNS0_4arch9wavefront6targetE1EEEvT1_,comdat
.Lfunc_end132:
	.size	_ZN7rocprim17ROCPRIM_400000_NS6detail17trampoline_kernelINS0_14default_configENS1_25partition_config_selectorILNS1_17partition_subalgoE8EN6thrust23THRUST_200600_302600_NS5tupleIffNS7_9null_typeES9_S9_S9_S9_S9_S9_S9_EENS0_10empty_typeEbEEZZNS1_14partition_implILS5_8ELb0ES3_jNS7_6detail15normal_iteratorINS7_10device_ptrISA_EEEEPSB_PKSB_NS0_5tupleIJSI_SB_EEENSM_IJSJ_SJ_EEENS0_18inequality_wrapperINS7_8equal_toISA_EEEEPmJSB_EEE10hipError_tPvRmT3_T4_T5_T6_T7_T9_mT8_P12ihipStream_tbDpT10_ENKUlT_T0_E_clISt17integral_constantIbLb0EES1C_IbLb1EEEEDaS18_S19_EUlS18_E_NS1_11comp_targetILNS1_3genE3ELNS1_11target_archE908ELNS1_3gpuE7ELNS1_3repE0EEENS1_30default_config_static_selectorELNS0_4arch9wavefront6targetE1EEEvT1_, .Lfunc_end132-_ZN7rocprim17ROCPRIM_400000_NS6detail17trampoline_kernelINS0_14default_configENS1_25partition_config_selectorILNS1_17partition_subalgoE8EN6thrust23THRUST_200600_302600_NS5tupleIffNS7_9null_typeES9_S9_S9_S9_S9_S9_S9_EENS0_10empty_typeEbEEZZNS1_14partition_implILS5_8ELb0ES3_jNS7_6detail15normal_iteratorINS7_10device_ptrISA_EEEEPSB_PKSB_NS0_5tupleIJSI_SB_EEENSM_IJSJ_SJ_EEENS0_18inequality_wrapperINS7_8equal_toISA_EEEEPmJSB_EEE10hipError_tPvRmT3_T4_T5_T6_T7_T9_mT8_P12ihipStream_tbDpT10_ENKUlT_T0_E_clISt17integral_constantIbLb0EES1C_IbLb1EEEEDaS18_S19_EUlS18_E_NS1_11comp_targetILNS1_3genE3ELNS1_11target_archE908ELNS1_3gpuE7ELNS1_3repE0EEENS1_30default_config_static_selectorELNS0_4arch9wavefront6targetE1EEEvT1_
                                        ; -- End function
	.section	.AMDGPU.csdata,"",@progbits
; Kernel info:
; codeLenInByte = 0
; NumSgprs: 6
; NumVgprs: 0
; NumAgprs: 0
; TotalNumVgprs: 0
; ScratchSize: 0
; MemoryBound: 0
; FloatMode: 240
; IeeeMode: 1
; LDSByteSize: 0 bytes/workgroup (compile time only)
; SGPRBlocks: 0
; VGPRBlocks: 0
; NumSGPRsForWavesPerEU: 6
; NumVGPRsForWavesPerEU: 1
; AccumOffset: 4
; Occupancy: 8
; WaveLimiterHint : 0
; COMPUTE_PGM_RSRC2:SCRATCH_EN: 0
; COMPUTE_PGM_RSRC2:USER_SGPR: 2
; COMPUTE_PGM_RSRC2:TRAP_HANDLER: 0
; COMPUTE_PGM_RSRC2:TGID_X_EN: 1
; COMPUTE_PGM_RSRC2:TGID_Y_EN: 0
; COMPUTE_PGM_RSRC2:TGID_Z_EN: 0
; COMPUTE_PGM_RSRC2:TIDIG_COMP_CNT: 0
; COMPUTE_PGM_RSRC3_GFX90A:ACCUM_OFFSET: 0
; COMPUTE_PGM_RSRC3_GFX90A:TG_SPLIT: 0
	.section	.text._ZN7rocprim17ROCPRIM_400000_NS6detail17trampoline_kernelINS0_14default_configENS1_25partition_config_selectorILNS1_17partition_subalgoE8EN6thrust23THRUST_200600_302600_NS5tupleIffNS7_9null_typeES9_S9_S9_S9_S9_S9_S9_EENS0_10empty_typeEbEEZZNS1_14partition_implILS5_8ELb0ES3_jNS7_6detail15normal_iteratorINS7_10device_ptrISA_EEEEPSB_PKSB_NS0_5tupleIJSI_SB_EEENSM_IJSJ_SJ_EEENS0_18inequality_wrapperINS7_8equal_toISA_EEEEPmJSB_EEE10hipError_tPvRmT3_T4_T5_T6_T7_T9_mT8_P12ihipStream_tbDpT10_ENKUlT_T0_E_clISt17integral_constantIbLb0EES1C_IbLb1EEEEDaS18_S19_EUlS18_E_NS1_11comp_targetILNS1_3genE2ELNS1_11target_archE906ELNS1_3gpuE6ELNS1_3repE0EEENS1_30default_config_static_selectorELNS0_4arch9wavefront6targetE1EEEvT1_,"axG",@progbits,_ZN7rocprim17ROCPRIM_400000_NS6detail17trampoline_kernelINS0_14default_configENS1_25partition_config_selectorILNS1_17partition_subalgoE8EN6thrust23THRUST_200600_302600_NS5tupleIffNS7_9null_typeES9_S9_S9_S9_S9_S9_S9_EENS0_10empty_typeEbEEZZNS1_14partition_implILS5_8ELb0ES3_jNS7_6detail15normal_iteratorINS7_10device_ptrISA_EEEEPSB_PKSB_NS0_5tupleIJSI_SB_EEENSM_IJSJ_SJ_EEENS0_18inequality_wrapperINS7_8equal_toISA_EEEEPmJSB_EEE10hipError_tPvRmT3_T4_T5_T6_T7_T9_mT8_P12ihipStream_tbDpT10_ENKUlT_T0_E_clISt17integral_constantIbLb0EES1C_IbLb1EEEEDaS18_S19_EUlS18_E_NS1_11comp_targetILNS1_3genE2ELNS1_11target_archE906ELNS1_3gpuE6ELNS1_3repE0EEENS1_30default_config_static_selectorELNS0_4arch9wavefront6targetE1EEEvT1_,comdat
	.protected	_ZN7rocprim17ROCPRIM_400000_NS6detail17trampoline_kernelINS0_14default_configENS1_25partition_config_selectorILNS1_17partition_subalgoE8EN6thrust23THRUST_200600_302600_NS5tupleIffNS7_9null_typeES9_S9_S9_S9_S9_S9_S9_EENS0_10empty_typeEbEEZZNS1_14partition_implILS5_8ELb0ES3_jNS7_6detail15normal_iteratorINS7_10device_ptrISA_EEEEPSB_PKSB_NS0_5tupleIJSI_SB_EEENSM_IJSJ_SJ_EEENS0_18inequality_wrapperINS7_8equal_toISA_EEEEPmJSB_EEE10hipError_tPvRmT3_T4_T5_T6_T7_T9_mT8_P12ihipStream_tbDpT10_ENKUlT_T0_E_clISt17integral_constantIbLb0EES1C_IbLb1EEEEDaS18_S19_EUlS18_E_NS1_11comp_targetILNS1_3genE2ELNS1_11target_archE906ELNS1_3gpuE6ELNS1_3repE0EEENS1_30default_config_static_selectorELNS0_4arch9wavefront6targetE1EEEvT1_ ; -- Begin function _ZN7rocprim17ROCPRIM_400000_NS6detail17trampoline_kernelINS0_14default_configENS1_25partition_config_selectorILNS1_17partition_subalgoE8EN6thrust23THRUST_200600_302600_NS5tupleIffNS7_9null_typeES9_S9_S9_S9_S9_S9_S9_EENS0_10empty_typeEbEEZZNS1_14partition_implILS5_8ELb0ES3_jNS7_6detail15normal_iteratorINS7_10device_ptrISA_EEEEPSB_PKSB_NS0_5tupleIJSI_SB_EEENSM_IJSJ_SJ_EEENS0_18inequality_wrapperINS7_8equal_toISA_EEEEPmJSB_EEE10hipError_tPvRmT3_T4_T5_T6_T7_T9_mT8_P12ihipStream_tbDpT10_ENKUlT_T0_E_clISt17integral_constantIbLb0EES1C_IbLb1EEEEDaS18_S19_EUlS18_E_NS1_11comp_targetILNS1_3genE2ELNS1_11target_archE906ELNS1_3gpuE6ELNS1_3repE0EEENS1_30default_config_static_selectorELNS0_4arch9wavefront6targetE1EEEvT1_
	.globl	_ZN7rocprim17ROCPRIM_400000_NS6detail17trampoline_kernelINS0_14default_configENS1_25partition_config_selectorILNS1_17partition_subalgoE8EN6thrust23THRUST_200600_302600_NS5tupleIffNS7_9null_typeES9_S9_S9_S9_S9_S9_S9_EENS0_10empty_typeEbEEZZNS1_14partition_implILS5_8ELb0ES3_jNS7_6detail15normal_iteratorINS7_10device_ptrISA_EEEEPSB_PKSB_NS0_5tupleIJSI_SB_EEENSM_IJSJ_SJ_EEENS0_18inequality_wrapperINS7_8equal_toISA_EEEEPmJSB_EEE10hipError_tPvRmT3_T4_T5_T6_T7_T9_mT8_P12ihipStream_tbDpT10_ENKUlT_T0_E_clISt17integral_constantIbLb0EES1C_IbLb1EEEEDaS18_S19_EUlS18_E_NS1_11comp_targetILNS1_3genE2ELNS1_11target_archE906ELNS1_3gpuE6ELNS1_3repE0EEENS1_30default_config_static_selectorELNS0_4arch9wavefront6targetE1EEEvT1_
	.p2align	8
	.type	_ZN7rocprim17ROCPRIM_400000_NS6detail17trampoline_kernelINS0_14default_configENS1_25partition_config_selectorILNS1_17partition_subalgoE8EN6thrust23THRUST_200600_302600_NS5tupleIffNS7_9null_typeES9_S9_S9_S9_S9_S9_S9_EENS0_10empty_typeEbEEZZNS1_14partition_implILS5_8ELb0ES3_jNS7_6detail15normal_iteratorINS7_10device_ptrISA_EEEEPSB_PKSB_NS0_5tupleIJSI_SB_EEENSM_IJSJ_SJ_EEENS0_18inequality_wrapperINS7_8equal_toISA_EEEEPmJSB_EEE10hipError_tPvRmT3_T4_T5_T6_T7_T9_mT8_P12ihipStream_tbDpT10_ENKUlT_T0_E_clISt17integral_constantIbLb0EES1C_IbLb1EEEEDaS18_S19_EUlS18_E_NS1_11comp_targetILNS1_3genE2ELNS1_11target_archE906ELNS1_3gpuE6ELNS1_3repE0EEENS1_30default_config_static_selectorELNS0_4arch9wavefront6targetE1EEEvT1_,@function
_ZN7rocprim17ROCPRIM_400000_NS6detail17trampoline_kernelINS0_14default_configENS1_25partition_config_selectorILNS1_17partition_subalgoE8EN6thrust23THRUST_200600_302600_NS5tupleIffNS7_9null_typeES9_S9_S9_S9_S9_S9_S9_EENS0_10empty_typeEbEEZZNS1_14partition_implILS5_8ELb0ES3_jNS7_6detail15normal_iteratorINS7_10device_ptrISA_EEEEPSB_PKSB_NS0_5tupleIJSI_SB_EEENSM_IJSJ_SJ_EEENS0_18inequality_wrapperINS7_8equal_toISA_EEEEPmJSB_EEE10hipError_tPvRmT3_T4_T5_T6_T7_T9_mT8_P12ihipStream_tbDpT10_ENKUlT_T0_E_clISt17integral_constantIbLb0EES1C_IbLb1EEEEDaS18_S19_EUlS18_E_NS1_11comp_targetILNS1_3genE2ELNS1_11target_archE906ELNS1_3gpuE6ELNS1_3repE0EEENS1_30default_config_static_selectorELNS0_4arch9wavefront6targetE1EEEvT1_: ; @_ZN7rocprim17ROCPRIM_400000_NS6detail17trampoline_kernelINS0_14default_configENS1_25partition_config_selectorILNS1_17partition_subalgoE8EN6thrust23THRUST_200600_302600_NS5tupleIffNS7_9null_typeES9_S9_S9_S9_S9_S9_S9_EENS0_10empty_typeEbEEZZNS1_14partition_implILS5_8ELb0ES3_jNS7_6detail15normal_iteratorINS7_10device_ptrISA_EEEEPSB_PKSB_NS0_5tupleIJSI_SB_EEENSM_IJSJ_SJ_EEENS0_18inequality_wrapperINS7_8equal_toISA_EEEEPmJSB_EEE10hipError_tPvRmT3_T4_T5_T6_T7_T9_mT8_P12ihipStream_tbDpT10_ENKUlT_T0_E_clISt17integral_constantIbLb0EES1C_IbLb1EEEEDaS18_S19_EUlS18_E_NS1_11comp_targetILNS1_3genE2ELNS1_11target_archE906ELNS1_3gpuE6ELNS1_3repE0EEENS1_30default_config_static_selectorELNS0_4arch9wavefront6targetE1EEEvT1_
; %bb.0:
	.section	.rodata,"a",@progbits
	.p2align	6, 0x0
	.amdhsa_kernel _ZN7rocprim17ROCPRIM_400000_NS6detail17trampoline_kernelINS0_14default_configENS1_25partition_config_selectorILNS1_17partition_subalgoE8EN6thrust23THRUST_200600_302600_NS5tupleIffNS7_9null_typeES9_S9_S9_S9_S9_S9_S9_EENS0_10empty_typeEbEEZZNS1_14partition_implILS5_8ELb0ES3_jNS7_6detail15normal_iteratorINS7_10device_ptrISA_EEEEPSB_PKSB_NS0_5tupleIJSI_SB_EEENSM_IJSJ_SJ_EEENS0_18inequality_wrapperINS7_8equal_toISA_EEEEPmJSB_EEE10hipError_tPvRmT3_T4_T5_T6_T7_T9_mT8_P12ihipStream_tbDpT10_ENKUlT_T0_E_clISt17integral_constantIbLb0EES1C_IbLb1EEEEDaS18_S19_EUlS18_E_NS1_11comp_targetILNS1_3genE2ELNS1_11target_archE906ELNS1_3gpuE6ELNS1_3repE0EEENS1_30default_config_static_selectorELNS0_4arch9wavefront6targetE1EEEvT1_
		.amdhsa_group_segment_fixed_size 0
		.amdhsa_private_segment_fixed_size 0
		.amdhsa_kernarg_size 128
		.amdhsa_user_sgpr_count 2
		.amdhsa_user_sgpr_dispatch_ptr 0
		.amdhsa_user_sgpr_queue_ptr 0
		.amdhsa_user_sgpr_kernarg_segment_ptr 1
		.amdhsa_user_sgpr_dispatch_id 0
		.amdhsa_user_sgpr_kernarg_preload_length 0
		.amdhsa_user_sgpr_kernarg_preload_offset 0
		.amdhsa_user_sgpr_private_segment_size 0
		.amdhsa_uses_dynamic_stack 0
		.amdhsa_enable_private_segment 0
		.amdhsa_system_sgpr_workgroup_id_x 1
		.amdhsa_system_sgpr_workgroup_id_y 0
		.amdhsa_system_sgpr_workgroup_id_z 0
		.amdhsa_system_sgpr_workgroup_info 0
		.amdhsa_system_vgpr_workitem_id 0
		.amdhsa_next_free_vgpr 1
		.amdhsa_next_free_sgpr 0
		.amdhsa_accum_offset 4
		.amdhsa_reserve_vcc 0
		.amdhsa_float_round_mode_32 0
		.amdhsa_float_round_mode_16_64 0
		.amdhsa_float_denorm_mode_32 3
		.amdhsa_float_denorm_mode_16_64 3
		.amdhsa_dx10_clamp 1
		.amdhsa_ieee_mode 1
		.amdhsa_fp16_overflow 0
		.amdhsa_tg_split 0
		.amdhsa_exception_fp_ieee_invalid_op 0
		.amdhsa_exception_fp_denorm_src 0
		.amdhsa_exception_fp_ieee_div_zero 0
		.amdhsa_exception_fp_ieee_overflow 0
		.amdhsa_exception_fp_ieee_underflow 0
		.amdhsa_exception_fp_ieee_inexact 0
		.amdhsa_exception_int_div_zero 0
	.end_amdhsa_kernel
	.section	.text._ZN7rocprim17ROCPRIM_400000_NS6detail17trampoline_kernelINS0_14default_configENS1_25partition_config_selectorILNS1_17partition_subalgoE8EN6thrust23THRUST_200600_302600_NS5tupleIffNS7_9null_typeES9_S9_S9_S9_S9_S9_S9_EENS0_10empty_typeEbEEZZNS1_14partition_implILS5_8ELb0ES3_jNS7_6detail15normal_iteratorINS7_10device_ptrISA_EEEEPSB_PKSB_NS0_5tupleIJSI_SB_EEENSM_IJSJ_SJ_EEENS0_18inequality_wrapperINS7_8equal_toISA_EEEEPmJSB_EEE10hipError_tPvRmT3_T4_T5_T6_T7_T9_mT8_P12ihipStream_tbDpT10_ENKUlT_T0_E_clISt17integral_constantIbLb0EES1C_IbLb1EEEEDaS18_S19_EUlS18_E_NS1_11comp_targetILNS1_3genE2ELNS1_11target_archE906ELNS1_3gpuE6ELNS1_3repE0EEENS1_30default_config_static_selectorELNS0_4arch9wavefront6targetE1EEEvT1_,"axG",@progbits,_ZN7rocprim17ROCPRIM_400000_NS6detail17trampoline_kernelINS0_14default_configENS1_25partition_config_selectorILNS1_17partition_subalgoE8EN6thrust23THRUST_200600_302600_NS5tupleIffNS7_9null_typeES9_S9_S9_S9_S9_S9_S9_EENS0_10empty_typeEbEEZZNS1_14partition_implILS5_8ELb0ES3_jNS7_6detail15normal_iteratorINS7_10device_ptrISA_EEEEPSB_PKSB_NS0_5tupleIJSI_SB_EEENSM_IJSJ_SJ_EEENS0_18inequality_wrapperINS7_8equal_toISA_EEEEPmJSB_EEE10hipError_tPvRmT3_T4_T5_T6_T7_T9_mT8_P12ihipStream_tbDpT10_ENKUlT_T0_E_clISt17integral_constantIbLb0EES1C_IbLb1EEEEDaS18_S19_EUlS18_E_NS1_11comp_targetILNS1_3genE2ELNS1_11target_archE906ELNS1_3gpuE6ELNS1_3repE0EEENS1_30default_config_static_selectorELNS0_4arch9wavefront6targetE1EEEvT1_,comdat
.Lfunc_end133:
	.size	_ZN7rocprim17ROCPRIM_400000_NS6detail17trampoline_kernelINS0_14default_configENS1_25partition_config_selectorILNS1_17partition_subalgoE8EN6thrust23THRUST_200600_302600_NS5tupleIffNS7_9null_typeES9_S9_S9_S9_S9_S9_S9_EENS0_10empty_typeEbEEZZNS1_14partition_implILS5_8ELb0ES3_jNS7_6detail15normal_iteratorINS7_10device_ptrISA_EEEEPSB_PKSB_NS0_5tupleIJSI_SB_EEENSM_IJSJ_SJ_EEENS0_18inequality_wrapperINS7_8equal_toISA_EEEEPmJSB_EEE10hipError_tPvRmT3_T4_T5_T6_T7_T9_mT8_P12ihipStream_tbDpT10_ENKUlT_T0_E_clISt17integral_constantIbLb0EES1C_IbLb1EEEEDaS18_S19_EUlS18_E_NS1_11comp_targetILNS1_3genE2ELNS1_11target_archE906ELNS1_3gpuE6ELNS1_3repE0EEENS1_30default_config_static_selectorELNS0_4arch9wavefront6targetE1EEEvT1_, .Lfunc_end133-_ZN7rocprim17ROCPRIM_400000_NS6detail17trampoline_kernelINS0_14default_configENS1_25partition_config_selectorILNS1_17partition_subalgoE8EN6thrust23THRUST_200600_302600_NS5tupleIffNS7_9null_typeES9_S9_S9_S9_S9_S9_S9_EENS0_10empty_typeEbEEZZNS1_14partition_implILS5_8ELb0ES3_jNS7_6detail15normal_iteratorINS7_10device_ptrISA_EEEEPSB_PKSB_NS0_5tupleIJSI_SB_EEENSM_IJSJ_SJ_EEENS0_18inequality_wrapperINS7_8equal_toISA_EEEEPmJSB_EEE10hipError_tPvRmT3_T4_T5_T6_T7_T9_mT8_P12ihipStream_tbDpT10_ENKUlT_T0_E_clISt17integral_constantIbLb0EES1C_IbLb1EEEEDaS18_S19_EUlS18_E_NS1_11comp_targetILNS1_3genE2ELNS1_11target_archE906ELNS1_3gpuE6ELNS1_3repE0EEENS1_30default_config_static_selectorELNS0_4arch9wavefront6targetE1EEEvT1_
                                        ; -- End function
	.section	.AMDGPU.csdata,"",@progbits
; Kernel info:
; codeLenInByte = 0
; NumSgprs: 6
; NumVgprs: 0
; NumAgprs: 0
; TotalNumVgprs: 0
; ScratchSize: 0
; MemoryBound: 0
; FloatMode: 240
; IeeeMode: 1
; LDSByteSize: 0 bytes/workgroup (compile time only)
; SGPRBlocks: 0
; VGPRBlocks: 0
; NumSGPRsForWavesPerEU: 6
; NumVGPRsForWavesPerEU: 1
; AccumOffset: 4
; Occupancy: 8
; WaveLimiterHint : 0
; COMPUTE_PGM_RSRC2:SCRATCH_EN: 0
; COMPUTE_PGM_RSRC2:USER_SGPR: 2
; COMPUTE_PGM_RSRC2:TRAP_HANDLER: 0
; COMPUTE_PGM_RSRC2:TGID_X_EN: 1
; COMPUTE_PGM_RSRC2:TGID_Y_EN: 0
; COMPUTE_PGM_RSRC2:TGID_Z_EN: 0
; COMPUTE_PGM_RSRC2:TIDIG_COMP_CNT: 0
; COMPUTE_PGM_RSRC3_GFX90A:ACCUM_OFFSET: 0
; COMPUTE_PGM_RSRC3_GFX90A:TG_SPLIT: 0
	.section	.text._ZN7rocprim17ROCPRIM_400000_NS6detail17trampoline_kernelINS0_14default_configENS1_25partition_config_selectorILNS1_17partition_subalgoE8EN6thrust23THRUST_200600_302600_NS5tupleIffNS7_9null_typeES9_S9_S9_S9_S9_S9_S9_EENS0_10empty_typeEbEEZZNS1_14partition_implILS5_8ELb0ES3_jNS7_6detail15normal_iteratorINS7_10device_ptrISA_EEEEPSB_PKSB_NS0_5tupleIJSI_SB_EEENSM_IJSJ_SJ_EEENS0_18inequality_wrapperINS7_8equal_toISA_EEEEPmJSB_EEE10hipError_tPvRmT3_T4_T5_T6_T7_T9_mT8_P12ihipStream_tbDpT10_ENKUlT_T0_E_clISt17integral_constantIbLb0EES1C_IbLb1EEEEDaS18_S19_EUlS18_E_NS1_11comp_targetILNS1_3genE10ELNS1_11target_archE1200ELNS1_3gpuE4ELNS1_3repE0EEENS1_30default_config_static_selectorELNS0_4arch9wavefront6targetE1EEEvT1_,"axG",@progbits,_ZN7rocprim17ROCPRIM_400000_NS6detail17trampoline_kernelINS0_14default_configENS1_25partition_config_selectorILNS1_17partition_subalgoE8EN6thrust23THRUST_200600_302600_NS5tupleIffNS7_9null_typeES9_S9_S9_S9_S9_S9_S9_EENS0_10empty_typeEbEEZZNS1_14partition_implILS5_8ELb0ES3_jNS7_6detail15normal_iteratorINS7_10device_ptrISA_EEEEPSB_PKSB_NS0_5tupleIJSI_SB_EEENSM_IJSJ_SJ_EEENS0_18inequality_wrapperINS7_8equal_toISA_EEEEPmJSB_EEE10hipError_tPvRmT3_T4_T5_T6_T7_T9_mT8_P12ihipStream_tbDpT10_ENKUlT_T0_E_clISt17integral_constantIbLb0EES1C_IbLb1EEEEDaS18_S19_EUlS18_E_NS1_11comp_targetILNS1_3genE10ELNS1_11target_archE1200ELNS1_3gpuE4ELNS1_3repE0EEENS1_30default_config_static_selectorELNS0_4arch9wavefront6targetE1EEEvT1_,comdat
	.protected	_ZN7rocprim17ROCPRIM_400000_NS6detail17trampoline_kernelINS0_14default_configENS1_25partition_config_selectorILNS1_17partition_subalgoE8EN6thrust23THRUST_200600_302600_NS5tupleIffNS7_9null_typeES9_S9_S9_S9_S9_S9_S9_EENS0_10empty_typeEbEEZZNS1_14partition_implILS5_8ELb0ES3_jNS7_6detail15normal_iteratorINS7_10device_ptrISA_EEEEPSB_PKSB_NS0_5tupleIJSI_SB_EEENSM_IJSJ_SJ_EEENS0_18inequality_wrapperINS7_8equal_toISA_EEEEPmJSB_EEE10hipError_tPvRmT3_T4_T5_T6_T7_T9_mT8_P12ihipStream_tbDpT10_ENKUlT_T0_E_clISt17integral_constantIbLb0EES1C_IbLb1EEEEDaS18_S19_EUlS18_E_NS1_11comp_targetILNS1_3genE10ELNS1_11target_archE1200ELNS1_3gpuE4ELNS1_3repE0EEENS1_30default_config_static_selectorELNS0_4arch9wavefront6targetE1EEEvT1_ ; -- Begin function _ZN7rocprim17ROCPRIM_400000_NS6detail17trampoline_kernelINS0_14default_configENS1_25partition_config_selectorILNS1_17partition_subalgoE8EN6thrust23THRUST_200600_302600_NS5tupleIffNS7_9null_typeES9_S9_S9_S9_S9_S9_S9_EENS0_10empty_typeEbEEZZNS1_14partition_implILS5_8ELb0ES3_jNS7_6detail15normal_iteratorINS7_10device_ptrISA_EEEEPSB_PKSB_NS0_5tupleIJSI_SB_EEENSM_IJSJ_SJ_EEENS0_18inequality_wrapperINS7_8equal_toISA_EEEEPmJSB_EEE10hipError_tPvRmT3_T4_T5_T6_T7_T9_mT8_P12ihipStream_tbDpT10_ENKUlT_T0_E_clISt17integral_constantIbLb0EES1C_IbLb1EEEEDaS18_S19_EUlS18_E_NS1_11comp_targetILNS1_3genE10ELNS1_11target_archE1200ELNS1_3gpuE4ELNS1_3repE0EEENS1_30default_config_static_selectorELNS0_4arch9wavefront6targetE1EEEvT1_
	.globl	_ZN7rocprim17ROCPRIM_400000_NS6detail17trampoline_kernelINS0_14default_configENS1_25partition_config_selectorILNS1_17partition_subalgoE8EN6thrust23THRUST_200600_302600_NS5tupleIffNS7_9null_typeES9_S9_S9_S9_S9_S9_S9_EENS0_10empty_typeEbEEZZNS1_14partition_implILS5_8ELb0ES3_jNS7_6detail15normal_iteratorINS7_10device_ptrISA_EEEEPSB_PKSB_NS0_5tupleIJSI_SB_EEENSM_IJSJ_SJ_EEENS0_18inequality_wrapperINS7_8equal_toISA_EEEEPmJSB_EEE10hipError_tPvRmT3_T4_T5_T6_T7_T9_mT8_P12ihipStream_tbDpT10_ENKUlT_T0_E_clISt17integral_constantIbLb0EES1C_IbLb1EEEEDaS18_S19_EUlS18_E_NS1_11comp_targetILNS1_3genE10ELNS1_11target_archE1200ELNS1_3gpuE4ELNS1_3repE0EEENS1_30default_config_static_selectorELNS0_4arch9wavefront6targetE1EEEvT1_
	.p2align	8
	.type	_ZN7rocprim17ROCPRIM_400000_NS6detail17trampoline_kernelINS0_14default_configENS1_25partition_config_selectorILNS1_17partition_subalgoE8EN6thrust23THRUST_200600_302600_NS5tupleIffNS7_9null_typeES9_S9_S9_S9_S9_S9_S9_EENS0_10empty_typeEbEEZZNS1_14partition_implILS5_8ELb0ES3_jNS7_6detail15normal_iteratorINS7_10device_ptrISA_EEEEPSB_PKSB_NS0_5tupleIJSI_SB_EEENSM_IJSJ_SJ_EEENS0_18inequality_wrapperINS7_8equal_toISA_EEEEPmJSB_EEE10hipError_tPvRmT3_T4_T5_T6_T7_T9_mT8_P12ihipStream_tbDpT10_ENKUlT_T0_E_clISt17integral_constantIbLb0EES1C_IbLb1EEEEDaS18_S19_EUlS18_E_NS1_11comp_targetILNS1_3genE10ELNS1_11target_archE1200ELNS1_3gpuE4ELNS1_3repE0EEENS1_30default_config_static_selectorELNS0_4arch9wavefront6targetE1EEEvT1_,@function
_ZN7rocprim17ROCPRIM_400000_NS6detail17trampoline_kernelINS0_14default_configENS1_25partition_config_selectorILNS1_17partition_subalgoE8EN6thrust23THRUST_200600_302600_NS5tupleIffNS7_9null_typeES9_S9_S9_S9_S9_S9_S9_EENS0_10empty_typeEbEEZZNS1_14partition_implILS5_8ELb0ES3_jNS7_6detail15normal_iteratorINS7_10device_ptrISA_EEEEPSB_PKSB_NS0_5tupleIJSI_SB_EEENSM_IJSJ_SJ_EEENS0_18inequality_wrapperINS7_8equal_toISA_EEEEPmJSB_EEE10hipError_tPvRmT3_T4_T5_T6_T7_T9_mT8_P12ihipStream_tbDpT10_ENKUlT_T0_E_clISt17integral_constantIbLb0EES1C_IbLb1EEEEDaS18_S19_EUlS18_E_NS1_11comp_targetILNS1_3genE10ELNS1_11target_archE1200ELNS1_3gpuE4ELNS1_3repE0EEENS1_30default_config_static_selectorELNS0_4arch9wavefront6targetE1EEEvT1_: ; @_ZN7rocprim17ROCPRIM_400000_NS6detail17trampoline_kernelINS0_14default_configENS1_25partition_config_selectorILNS1_17partition_subalgoE8EN6thrust23THRUST_200600_302600_NS5tupleIffNS7_9null_typeES9_S9_S9_S9_S9_S9_S9_EENS0_10empty_typeEbEEZZNS1_14partition_implILS5_8ELb0ES3_jNS7_6detail15normal_iteratorINS7_10device_ptrISA_EEEEPSB_PKSB_NS0_5tupleIJSI_SB_EEENSM_IJSJ_SJ_EEENS0_18inequality_wrapperINS7_8equal_toISA_EEEEPmJSB_EEE10hipError_tPvRmT3_T4_T5_T6_T7_T9_mT8_P12ihipStream_tbDpT10_ENKUlT_T0_E_clISt17integral_constantIbLb0EES1C_IbLb1EEEEDaS18_S19_EUlS18_E_NS1_11comp_targetILNS1_3genE10ELNS1_11target_archE1200ELNS1_3gpuE4ELNS1_3repE0EEENS1_30default_config_static_selectorELNS0_4arch9wavefront6targetE1EEEvT1_
; %bb.0:
	.section	.rodata,"a",@progbits
	.p2align	6, 0x0
	.amdhsa_kernel _ZN7rocprim17ROCPRIM_400000_NS6detail17trampoline_kernelINS0_14default_configENS1_25partition_config_selectorILNS1_17partition_subalgoE8EN6thrust23THRUST_200600_302600_NS5tupleIffNS7_9null_typeES9_S9_S9_S9_S9_S9_S9_EENS0_10empty_typeEbEEZZNS1_14partition_implILS5_8ELb0ES3_jNS7_6detail15normal_iteratorINS7_10device_ptrISA_EEEEPSB_PKSB_NS0_5tupleIJSI_SB_EEENSM_IJSJ_SJ_EEENS0_18inequality_wrapperINS7_8equal_toISA_EEEEPmJSB_EEE10hipError_tPvRmT3_T4_T5_T6_T7_T9_mT8_P12ihipStream_tbDpT10_ENKUlT_T0_E_clISt17integral_constantIbLb0EES1C_IbLb1EEEEDaS18_S19_EUlS18_E_NS1_11comp_targetILNS1_3genE10ELNS1_11target_archE1200ELNS1_3gpuE4ELNS1_3repE0EEENS1_30default_config_static_selectorELNS0_4arch9wavefront6targetE1EEEvT1_
		.amdhsa_group_segment_fixed_size 0
		.amdhsa_private_segment_fixed_size 0
		.amdhsa_kernarg_size 128
		.amdhsa_user_sgpr_count 2
		.amdhsa_user_sgpr_dispatch_ptr 0
		.amdhsa_user_sgpr_queue_ptr 0
		.amdhsa_user_sgpr_kernarg_segment_ptr 1
		.amdhsa_user_sgpr_dispatch_id 0
		.amdhsa_user_sgpr_kernarg_preload_length 0
		.amdhsa_user_sgpr_kernarg_preload_offset 0
		.amdhsa_user_sgpr_private_segment_size 0
		.amdhsa_uses_dynamic_stack 0
		.amdhsa_enable_private_segment 0
		.amdhsa_system_sgpr_workgroup_id_x 1
		.amdhsa_system_sgpr_workgroup_id_y 0
		.amdhsa_system_sgpr_workgroup_id_z 0
		.amdhsa_system_sgpr_workgroup_info 0
		.amdhsa_system_vgpr_workitem_id 0
		.amdhsa_next_free_vgpr 1
		.amdhsa_next_free_sgpr 0
		.amdhsa_accum_offset 4
		.amdhsa_reserve_vcc 0
		.amdhsa_float_round_mode_32 0
		.amdhsa_float_round_mode_16_64 0
		.amdhsa_float_denorm_mode_32 3
		.amdhsa_float_denorm_mode_16_64 3
		.amdhsa_dx10_clamp 1
		.amdhsa_ieee_mode 1
		.amdhsa_fp16_overflow 0
		.amdhsa_tg_split 0
		.amdhsa_exception_fp_ieee_invalid_op 0
		.amdhsa_exception_fp_denorm_src 0
		.amdhsa_exception_fp_ieee_div_zero 0
		.amdhsa_exception_fp_ieee_overflow 0
		.amdhsa_exception_fp_ieee_underflow 0
		.amdhsa_exception_fp_ieee_inexact 0
		.amdhsa_exception_int_div_zero 0
	.end_amdhsa_kernel
	.section	.text._ZN7rocprim17ROCPRIM_400000_NS6detail17trampoline_kernelINS0_14default_configENS1_25partition_config_selectorILNS1_17partition_subalgoE8EN6thrust23THRUST_200600_302600_NS5tupleIffNS7_9null_typeES9_S9_S9_S9_S9_S9_S9_EENS0_10empty_typeEbEEZZNS1_14partition_implILS5_8ELb0ES3_jNS7_6detail15normal_iteratorINS7_10device_ptrISA_EEEEPSB_PKSB_NS0_5tupleIJSI_SB_EEENSM_IJSJ_SJ_EEENS0_18inequality_wrapperINS7_8equal_toISA_EEEEPmJSB_EEE10hipError_tPvRmT3_T4_T5_T6_T7_T9_mT8_P12ihipStream_tbDpT10_ENKUlT_T0_E_clISt17integral_constantIbLb0EES1C_IbLb1EEEEDaS18_S19_EUlS18_E_NS1_11comp_targetILNS1_3genE10ELNS1_11target_archE1200ELNS1_3gpuE4ELNS1_3repE0EEENS1_30default_config_static_selectorELNS0_4arch9wavefront6targetE1EEEvT1_,"axG",@progbits,_ZN7rocprim17ROCPRIM_400000_NS6detail17trampoline_kernelINS0_14default_configENS1_25partition_config_selectorILNS1_17partition_subalgoE8EN6thrust23THRUST_200600_302600_NS5tupleIffNS7_9null_typeES9_S9_S9_S9_S9_S9_S9_EENS0_10empty_typeEbEEZZNS1_14partition_implILS5_8ELb0ES3_jNS7_6detail15normal_iteratorINS7_10device_ptrISA_EEEEPSB_PKSB_NS0_5tupleIJSI_SB_EEENSM_IJSJ_SJ_EEENS0_18inequality_wrapperINS7_8equal_toISA_EEEEPmJSB_EEE10hipError_tPvRmT3_T4_T5_T6_T7_T9_mT8_P12ihipStream_tbDpT10_ENKUlT_T0_E_clISt17integral_constantIbLb0EES1C_IbLb1EEEEDaS18_S19_EUlS18_E_NS1_11comp_targetILNS1_3genE10ELNS1_11target_archE1200ELNS1_3gpuE4ELNS1_3repE0EEENS1_30default_config_static_selectorELNS0_4arch9wavefront6targetE1EEEvT1_,comdat
.Lfunc_end134:
	.size	_ZN7rocprim17ROCPRIM_400000_NS6detail17trampoline_kernelINS0_14default_configENS1_25partition_config_selectorILNS1_17partition_subalgoE8EN6thrust23THRUST_200600_302600_NS5tupleIffNS7_9null_typeES9_S9_S9_S9_S9_S9_S9_EENS0_10empty_typeEbEEZZNS1_14partition_implILS5_8ELb0ES3_jNS7_6detail15normal_iteratorINS7_10device_ptrISA_EEEEPSB_PKSB_NS0_5tupleIJSI_SB_EEENSM_IJSJ_SJ_EEENS0_18inequality_wrapperINS7_8equal_toISA_EEEEPmJSB_EEE10hipError_tPvRmT3_T4_T5_T6_T7_T9_mT8_P12ihipStream_tbDpT10_ENKUlT_T0_E_clISt17integral_constantIbLb0EES1C_IbLb1EEEEDaS18_S19_EUlS18_E_NS1_11comp_targetILNS1_3genE10ELNS1_11target_archE1200ELNS1_3gpuE4ELNS1_3repE0EEENS1_30default_config_static_selectorELNS0_4arch9wavefront6targetE1EEEvT1_, .Lfunc_end134-_ZN7rocprim17ROCPRIM_400000_NS6detail17trampoline_kernelINS0_14default_configENS1_25partition_config_selectorILNS1_17partition_subalgoE8EN6thrust23THRUST_200600_302600_NS5tupleIffNS7_9null_typeES9_S9_S9_S9_S9_S9_S9_EENS0_10empty_typeEbEEZZNS1_14partition_implILS5_8ELb0ES3_jNS7_6detail15normal_iteratorINS7_10device_ptrISA_EEEEPSB_PKSB_NS0_5tupleIJSI_SB_EEENSM_IJSJ_SJ_EEENS0_18inequality_wrapperINS7_8equal_toISA_EEEEPmJSB_EEE10hipError_tPvRmT3_T4_T5_T6_T7_T9_mT8_P12ihipStream_tbDpT10_ENKUlT_T0_E_clISt17integral_constantIbLb0EES1C_IbLb1EEEEDaS18_S19_EUlS18_E_NS1_11comp_targetILNS1_3genE10ELNS1_11target_archE1200ELNS1_3gpuE4ELNS1_3repE0EEENS1_30default_config_static_selectorELNS0_4arch9wavefront6targetE1EEEvT1_
                                        ; -- End function
	.section	.AMDGPU.csdata,"",@progbits
; Kernel info:
; codeLenInByte = 0
; NumSgprs: 6
; NumVgprs: 0
; NumAgprs: 0
; TotalNumVgprs: 0
; ScratchSize: 0
; MemoryBound: 0
; FloatMode: 240
; IeeeMode: 1
; LDSByteSize: 0 bytes/workgroup (compile time only)
; SGPRBlocks: 0
; VGPRBlocks: 0
; NumSGPRsForWavesPerEU: 6
; NumVGPRsForWavesPerEU: 1
; AccumOffset: 4
; Occupancy: 8
; WaveLimiterHint : 0
; COMPUTE_PGM_RSRC2:SCRATCH_EN: 0
; COMPUTE_PGM_RSRC2:USER_SGPR: 2
; COMPUTE_PGM_RSRC2:TRAP_HANDLER: 0
; COMPUTE_PGM_RSRC2:TGID_X_EN: 1
; COMPUTE_PGM_RSRC2:TGID_Y_EN: 0
; COMPUTE_PGM_RSRC2:TGID_Z_EN: 0
; COMPUTE_PGM_RSRC2:TIDIG_COMP_CNT: 0
; COMPUTE_PGM_RSRC3_GFX90A:ACCUM_OFFSET: 0
; COMPUTE_PGM_RSRC3_GFX90A:TG_SPLIT: 0
	.section	.text._ZN7rocprim17ROCPRIM_400000_NS6detail17trampoline_kernelINS0_14default_configENS1_25partition_config_selectorILNS1_17partition_subalgoE8EN6thrust23THRUST_200600_302600_NS5tupleIffNS7_9null_typeES9_S9_S9_S9_S9_S9_S9_EENS0_10empty_typeEbEEZZNS1_14partition_implILS5_8ELb0ES3_jNS7_6detail15normal_iteratorINS7_10device_ptrISA_EEEEPSB_PKSB_NS0_5tupleIJSI_SB_EEENSM_IJSJ_SJ_EEENS0_18inequality_wrapperINS7_8equal_toISA_EEEEPmJSB_EEE10hipError_tPvRmT3_T4_T5_T6_T7_T9_mT8_P12ihipStream_tbDpT10_ENKUlT_T0_E_clISt17integral_constantIbLb0EES1C_IbLb1EEEEDaS18_S19_EUlS18_E_NS1_11comp_targetILNS1_3genE9ELNS1_11target_archE1100ELNS1_3gpuE3ELNS1_3repE0EEENS1_30default_config_static_selectorELNS0_4arch9wavefront6targetE1EEEvT1_,"axG",@progbits,_ZN7rocprim17ROCPRIM_400000_NS6detail17trampoline_kernelINS0_14default_configENS1_25partition_config_selectorILNS1_17partition_subalgoE8EN6thrust23THRUST_200600_302600_NS5tupleIffNS7_9null_typeES9_S9_S9_S9_S9_S9_S9_EENS0_10empty_typeEbEEZZNS1_14partition_implILS5_8ELb0ES3_jNS7_6detail15normal_iteratorINS7_10device_ptrISA_EEEEPSB_PKSB_NS0_5tupleIJSI_SB_EEENSM_IJSJ_SJ_EEENS0_18inequality_wrapperINS7_8equal_toISA_EEEEPmJSB_EEE10hipError_tPvRmT3_T4_T5_T6_T7_T9_mT8_P12ihipStream_tbDpT10_ENKUlT_T0_E_clISt17integral_constantIbLb0EES1C_IbLb1EEEEDaS18_S19_EUlS18_E_NS1_11comp_targetILNS1_3genE9ELNS1_11target_archE1100ELNS1_3gpuE3ELNS1_3repE0EEENS1_30default_config_static_selectorELNS0_4arch9wavefront6targetE1EEEvT1_,comdat
	.protected	_ZN7rocprim17ROCPRIM_400000_NS6detail17trampoline_kernelINS0_14default_configENS1_25partition_config_selectorILNS1_17partition_subalgoE8EN6thrust23THRUST_200600_302600_NS5tupleIffNS7_9null_typeES9_S9_S9_S9_S9_S9_S9_EENS0_10empty_typeEbEEZZNS1_14partition_implILS5_8ELb0ES3_jNS7_6detail15normal_iteratorINS7_10device_ptrISA_EEEEPSB_PKSB_NS0_5tupleIJSI_SB_EEENSM_IJSJ_SJ_EEENS0_18inequality_wrapperINS7_8equal_toISA_EEEEPmJSB_EEE10hipError_tPvRmT3_T4_T5_T6_T7_T9_mT8_P12ihipStream_tbDpT10_ENKUlT_T0_E_clISt17integral_constantIbLb0EES1C_IbLb1EEEEDaS18_S19_EUlS18_E_NS1_11comp_targetILNS1_3genE9ELNS1_11target_archE1100ELNS1_3gpuE3ELNS1_3repE0EEENS1_30default_config_static_selectorELNS0_4arch9wavefront6targetE1EEEvT1_ ; -- Begin function _ZN7rocprim17ROCPRIM_400000_NS6detail17trampoline_kernelINS0_14default_configENS1_25partition_config_selectorILNS1_17partition_subalgoE8EN6thrust23THRUST_200600_302600_NS5tupleIffNS7_9null_typeES9_S9_S9_S9_S9_S9_S9_EENS0_10empty_typeEbEEZZNS1_14partition_implILS5_8ELb0ES3_jNS7_6detail15normal_iteratorINS7_10device_ptrISA_EEEEPSB_PKSB_NS0_5tupleIJSI_SB_EEENSM_IJSJ_SJ_EEENS0_18inequality_wrapperINS7_8equal_toISA_EEEEPmJSB_EEE10hipError_tPvRmT3_T4_T5_T6_T7_T9_mT8_P12ihipStream_tbDpT10_ENKUlT_T0_E_clISt17integral_constantIbLb0EES1C_IbLb1EEEEDaS18_S19_EUlS18_E_NS1_11comp_targetILNS1_3genE9ELNS1_11target_archE1100ELNS1_3gpuE3ELNS1_3repE0EEENS1_30default_config_static_selectorELNS0_4arch9wavefront6targetE1EEEvT1_
	.globl	_ZN7rocprim17ROCPRIM_400000_NS6detail17trampoline_kernelINS0_14default_configENS1_25partition_config_selectorILNS1_17partition_subalgoE8EN6thrust23THRUST_200600_302600_NS5tupleIffNS7_9null_typeES9_S9_S9_S9_S9_S9_S9_EENS0_10empty_typeEbEEZZNS1_14partition_implILS5_8ELb0ES3_jNS7_6detail15normal_iteratorINS7_10device_ptrISA_EEEEPSB_PKSB_NS0_5tupleIJSI_SB_EEENSM_IJSJ_SJ_EEENS0_18inequality_wrapperINS7_8equal_toISA_EEEEPmJSB_EEE10hipError_tPvRmT3_T4_T5_T6_T7_T9_mT8_P12ihipStream_tbDpT10_ENKUlT_T0_E_clISt17integral_constantIbLb0EES1C_IbLb1EEEEDaS18_S19_EUlS18_E_NS1_11comp_targetILNS1_3genE9ELNS1_11target_archE1100ELNS1_3gpuE3ELNS1_3repE0EEENS1_30default_config_static_selectorELNS0_4arch9wavefront6targetE1EEEvT1_
	.p2align	8
	.type	_ZN7rocprim17ROCPRIM_400000_NS6detail17trampoline_kernelINS0_14default_configENS1_25partition_config_selectorILNS1_17partition_subalgoE8EN6thrust23THRUST_200600_302600_NS5tupleIffNS7_9null_typeES9_S9_S9_S9_S9_S9_S9_EENS0_10empty_typeEbEEZZNS1_14partition_implILS5_8ELb0ES3_jNS7_6detail15normal_iteratorINS7_10device_ptrISA_EEEEPSB_PKSB_NS0_5tupleIJSI_SB_EEENSM_IJSJ_SJ_EEENS0_18inequality_wrapperINS7_8equal_toISA_EEEEPmJSB_EEE10hipError_tPvRmT3_T4_T5_T6_T7_T9_mT8_P12ihipStream_tbDpT10_ENKUlT_T0_E_clISt17integral_constantIbLb0EES1C_IbLb1EEEEDaS18_S19_EUlS18_E_NS1_11comp_targetILNS1_3genE9ELNS1_11target_archE1100ELNS1_3gpuE3ELNS1_3repE0EEENS1_30default_config_static_selectorELNS0_4arch9wavefront6targetE1EEEvT1_,@function
_ZN7rocprim17ROCPRIM_400000_NS6detail17trampoline_kernelINS0_14default_configENS1_25partition_config_selectorILNS1_17partition_subalgoE8EN6thrust23THRUST_200600_302600_NS5tupleIffNS7_9null_typeES9_S9_S9_S9_S9_S9_S9_EENS0_10empty_typeEbEEZZNS1_14partition_implILS5_8ELb0ES3_jNS7_6detail15normal_iteratorINS7_10device_ptrISA_EEEEPSB_PKSB_NS0_5tupleIJSI_SB_EEENSM_IJSJ_SJ_EEENS0_18inequality_wrapperINS7_8equal_toISA_EEEEPmJSB_EEE10hipError_tPvRmT3_T4_T5_T6_T7_T9_mT8_P12ihipStream_tbDpT10_ENKUlT_T0_E_clISt17integral_constantIbLb0EES1C_IbLb1EEEEDaS18_S19_EUlS18_E_NS1_11comp_targetILNS1_3genE9ELNS1_11target_archE1100ELNS1_3gpuE3ELNS1_3repE0EEENS1_30default_config_static_selectorELNS0_4arch9wavefront6targetE1EEEvT1_: ; @_ZN7rocprim17ROCPRIM_400000_NS6detail17trampoline_kernelINS0_14default_configENS1_25partition_config_selectorILNS1_17partition_subalgoE8EN6thrust23THRUST_200600_302600_NS5tupleIffNS7_9null_typeES9_S9_S9_S9_S9_S9_S9_EENS0_10empty_typeEbEEZZNS1_14partition_implILS5_8ELb0ES3_jNS7_6detail15normal_iteratorINS7_10device_ptrISA_EEEEPSB_PKSB_NS0_5tupleIJSI_SB_EEENSM_IJSJ_SJ_EEENS0_18inequality_wrapperINS7_8equal_toISA_EEEEPmJSB_EEE10hipError_tPvRmT3_T4_T5_T6_T7_T9_mT8_P12ihipStream_tbDpT10_ENKUlT_T0_E_clISt17integral_constantIbLb0EES1C_IbLb1EEEEDaS18_S19_EUlS18_E_NS1_11comp_targetILNS1_3genE9ELNS1_11target_archE1100ELNS1_3gpuE3ELNS1_3repE0EEENS1_30default_config_static_selectorELNS0_4arch9wavefront6targetE1EEEvT1_
; %bb.0:
	.section	.rodata,"a",@progbits
	.p2align	6, 0x0
	.amdhsa_kernel _ZN7rocprim17ROCPRIM_400000_NS6detail17trampoline_kernelINS0_14default_configENS1_25partition_config_selectorILNS1_17partition_subalgoE8EN6thrust23THRUST_200600_302600_NS5tupleIffNS7_9null_typeES9_S9_S9_S9_S9_S9_S9_EENS0_10empty_typeEbEEZZNS1_14partition_implILS5_8ELb0ES3_jNS7_6detail15normal_iteratorINS7_10device_ptrISA_EEEEPSB_PKSB_NS0_5tupleIJSI_SB_EEENSM_IJSJ_SJ_EEENS0_18inequality_wrapperINS7_8equal_toISA_EEEEPmJSB_EEE10hipError_tPvRmT3_T4_T5_T6_T7_T9_mT8_P12ihipStream_tbDpT10_ENKUlT_T0_E_clISt17integral_constantIbLb0EES1C_IbLb1EEEEDaS18_S19_EUlS18_E_NS1_11comp_targetILNS1_3genE9ELNS1_11target_archE1100ELNS1_3gpuE3ELNS1_3repE0EEENS1_30default_config_static_selectorELNS0_4arch9wavefront6targetE1EEEvT1_
		.amdhsa_group_segment_fixed_size 0
		.amdhsa_private_segment_fixed_size 0
		.amdhsa_kernarg_size 128
		.amdhsa_user_sgpr_count 2
		.amdhsa_user_sgpr_dispatch_ptr 0
		.amdhsa_user_sgpr_queue_ptr 0
		.amdhsa_user_sgpr_kernarg_segment_ptr 1
		.amdhsa_user_sgpr_dispatch_id 0
		.amdhsa_user_sgpr_kernarg_preload_length 0
		.amdhsa_user_sgpr_kernarg_preload_offset 0
		.amdhsa_user_sgpr_private_segment_size 0
		.amdhsa_uses_dynamic_stack 0
		.amdhsa_enable_private_segment 0
		.amdhsa_system_sgpr_workgroup_id_x 1
		.amdhsa_system_sgpr_workgroup_id_y 0
		.amdhsa_system_sgpr_workgroup_id_z 0
		.amdhsa_system_sgpr_workgroup_info 0
		.amdhsa_system_vgpr_workitem_id 0
		.amdhsa_next_free_vgpr 1
		.amdhsa_next_free_sgpr 0
		.amdhsa_accum_offset 4
		.amdhsa_reserve_vcc 0
		.amdhsa_float_round_mode_32 0
		.amdhsa_float_round_mode_16_64 0
		.amdhsa_float_denorm_mode_32 3
		.amdhsa_float_denorm_mode_16_64 3
		.amdhsa_dx10_clamp 1
		.amdhsa_ieee_mode 1
		.amdhsa_fp16_overflow 0
		.amdhsa_tg_split 0
		.amdhsa_exception_fp_ieee_invalid_op 0
		.amdhsa_exception_fp_denorm_src 0
		.amdhsa_exception_fp_ieee_div_zero 0
		.amdhsa_exception_fp_ieee_overflow 0
		.amdhsa_exception_fp_ieee_underflow 0
		.amdhsa_exception_fp_ieee_inexact 0
		.amdhsa_exception_int_div_zero 0
	.end_amdhsa_kernel
	.section	.text._ZN7rocprim17ROCPRIM_400000_NS6detail17trampoline_kernelINS0_14default_configENS1_25partition_config_selectorILNS1_17partition_subalgoE8EN6thrust23THRUST_200600_302600_NS5tupleIffNS7_9null_typeES9_S9_S9_S9_S9_S9_S9_EENS0_10empty_typeEbEEZZNS1_14partition_implILS5_8ELb0ES3_jNS7_6detail15normal_iteratorINS7_10device_ptrISA_EEEEPSB_PKSB_NS0_5tupleIJSI_SB_EEENSM_IJSJ_SJ_EEENS0_18inequality_wrapperINS7_8equal_toISA_EEEEPmJSB_EEE10hipError_tPvRmT3_T4_T5_T6_T7_T9_mT8_P12ihipStream_tbDpT10_ENKUlT_T0_E_clISt17integral_constantIbLb0EES1C_IbLb1EEEEDaS18_S19_EUlS18_E_NS1_11comp_targetILNS1_3genE9ELNS1_11target_archE1100ELNS1_3gpuE3ELNS1_3repE0EEENS1_30default_config_static_selectorELNS0_4arch9wavefront6targetE1EEEvT1_,"axG",@progbits,_ZN7rocprim17ROCPRIM_400000_NS6detail17trampoline_kernelINS0_14default_configENS1_25partition_config_selectorILNS1_17partition_subalgoE8EN6thrust23THRUST_200600_302600_NS5tupleIffNS7_9null_typeES9_S9_S9_S9_S9_S9_S9_EENS0_10empty_typeEbEEZZNS1_14partition_implILS5_8ELb0ES3_jNS7_6detail15normal_iteratorINS7_10device_ptrISA_EEEEPSB_PKSB_NS0_5tupleIJSI_SB_EEENSM_IJSJ_SJ_EEENS0_18inequality_wrapperINS7_8equal_toISA_EEEEPmJSB_EEE10hipError_tPvRmT3_T4_T5_T6_T7_T9_mT8_P12ihipStream_tbDpT10_ENKUlT_T0_E_clISt17integral_constantIbLb0EES1C_IbLb1EEEEDaS18_S19_EUlS18_E_NS1_11comp_targetILNS1_3genE9ELNS1_11target_archE1100ELNS1_3gpuE3ELNS1_3repE0EEENS1_30default_config_static_selectorELNS0_4arch9wavefront6targetE1EEEvT1_,comdat
.Lfunc_end135:
	.size	_ZN7rocprim17ROCPRIM_400000_NS6detail17trampoline_kernelINS0_14default_configENS1_25partition_config_selectorILNS1_17partition_subalgoE8EN6thrust23THRUST_200600_302600_NS5tupleIffNS7_9null_typeES9_S9_S9_S9_S9_S9_S9_EENS0_10empty_typeEbEEZZNS1_14partition_implILS5_8ELb0ES3_jNS7_6detail15normal_iteratorINS7_10device_ptrISA_EEEEPSB_PKSB_NS0_5tupleIJSI_SB_EEENSM_IJSJ_SJ_EEENS0_18inequality_wrapperINS7_8equal_toISA_EEEEPmJSB_EEE10hipError_tPvRmT3_T4_T5_T6_T7_T9_mT8_P12ihipStream_tbDpT10_ENKUlT_T0_E_clISt17integral_constantIbLb0EES1C_IbLb1EEEEDaS18_S19_EUlS18_E_NS1_11comp_targetILNS1_3genE9ELNS1_11target_archE1100ELNS1_3gpuE3ELNS1_3repE0EEENS1_30default_config_static_selectorELNS0_4arch9wavefront6targetE1EEEvT1_, .Lfunc_end135-_ZN7rocprim17ROCPRIM_400000_NS6detail17trampoline_kernelINS0_14default_configENS1_25partition_config_selectorILNS1_17partition_subalgoE8EN6thrust23THRUST_200600_302600_NS5tupleIffNS7_9null_typeES9_S9_S9_S9_S9_S9_S9_EENS0_10empty_typeEbEEZZNS1_14partition_implILS5_8ELb0ES3_jNS7_6detail15normal_iteratorINS7_10device_ptrISA_EEEEPSB_PKSB_NS0_5tupleIJSI_SB_EEENSM_IJSJ_SJ_EEENS0_18inequality_wrapperINS7_8equal_toISA_EEEEPmJSB_EEE10hipError_tPvRmT3_T4_T5_T6_T7_T9_mT8_P12ihipStream_tbDpT10_ENKUlT_T0_E_clISt17integral_constantIbLb0EES1C_IbLb1EEEEDaS18_S19_EUlS18_E_NS1_11comp_targetILNS1_3genE9ELNS1_11target_archE1100ELNS1_3gpuE3ELNS1_3repE0EEENS1_30default_config_static_selectorELNS0_4arch9wavefront6targetE1EEEvT1_
                                        ; -- End function
	.section	.AMDGPU.csdata,"",@progbits
; Kernel info:
; codeLenInByte = 0
; NumSgprs: 6
; NumVgprs: 0
; NumAgprs: 0
; TotalNumVgprs: 0
; ScratchSize: 0
; MemoryBound: 0
; FloatMode: 240
; IeeeMode: 1
; LDSByteSize: 0 bytes/workgroup (compile time only)
; SGPRBlocks: 0
; VGPRBlocks: 0
; NumSGPRsForWavesPerEU: 6
; NumVGPRsForWavesPerEU: 1
; AccumOffset: 4
; Occupancy: 8
; WaveLimiterHint : 0
; COMPUTE_PGM_RSRC2:SCRATCH_EN: 0
; COMPUTE_PGM_RSRC2:USER_SGPR: 2
; COMPUTE_PGM_RSRC2:TRAP_HANDLER: 0
; COMPUTE_PGM_RSRC2:TGID_X_EN: 1
; COMPUTE_PGM_RSRC2:TGID_Y_EN: 0
; COMPUTE_PGM_RSRC2:TGID_Z_EN: 0
; COMPUTE_PGM_RSRC2:TIDIG_COMP_CNT: 0
; COMPUTE_PGM_RSRC3_GFX90A:ACCUM_OFFSET: 0
; COMPUTE_PGM_RSRC3_GFX90A:TG_SPLIT: 0
	.section	.text._ZN7rocprim17ROCPRIM_400000_NS6detail17trampoline_kernelINS0_14default_configENS1_25partition_config_selectorILNS1_17partition_subalgoE8EN6thrust23THRUST_200600_302600_NS5tupleIffNS7_9null_typeES9_S9_S9_S9_S9_S9_S9_EENS0_10empty_typeEbEEZZNS1_14partition_implILS5_8ELb0ES3_jNS7_6detail15normal_iteratorINS7_10device_ptrISA_EEEEPSB_PKSB_NS0_5tupleIJSI_SB_EEENSM_IJSJ_SJ_EEENS0_18inequality_wrapperINS7_8equal_toISA_EEEEPmJSB_EEE10hipError_tPvRmT3_T4_T5_T6_T7_T9_mT8_P12ihipStream_tbDpT10_ENKUlT_T0_E_clISt17integral_constantIbLb0EES1C_IbLb1EEEEDaS18_S19_EUlS18_E_NS1_11comp_targetILNS1_3genE8ELNS1_11target_archE1030ELNS1_3gpuE2ELNS1_3repE0EEENS1_30default_config_static_selectorELNS0_4arch9wavefront6targetE1EEEvT1_,"axG",@progbits,_ZN7rocprim17ROCPRIM_400000_NS6detail17trampoline_kernelINS0_14default_configENS1_25partition_config_selectorILNS1_17partition_subalgoE8EN6thrust23THRUST_200600_302600_NS5tupleIffNS7_9null_typeES9_S9_S9_S9_S9_S9_S9_EENS0_10empty_typeEbEEZZNS1_14partition_implILS5_8ELb0ES3_jNS7_6detail15normal_iteratorINS7_10device_ptrISA_EEEEPSB_PKSB_NS0_5tupleIJSI_SB_EEENSM_IJSJ_SJ_EEENS0_18inequality_wrapperINS7_8equal_toISA_EEEEPmJSB_EEE10hipError_tPvRmT3_T4_T5_T6_T7_T9_mT8_P12ihipStream_tbDpT10_ENKUlT_T0_E_clISt17integral_constantIbLb0EES1C_IbLb1EEEEDaS18_S19_EUlS18_E_NS1_11comp_targetILNS1_3genE8ELNS1_11target_archE1030ELNS1_3gpuE2ELNS1_3repE0EEENS1_30default_config_static_selectorELNS0_4arch9wavefront6targetE1EEEvT1_,comdat
	.protected	_ZN7rocprim17ROCPRIM_400000_NS6detail17trampoline_kernelINS0_14default_configENS1_25partition_config_selectorILNS1_17partition_subalgoE8EN6thrust23THRUST_200600_302600_NS5tupleIffNS7_9null_typeES9_S9_S9_S9_S9_S9_S9_EENS0_10empty_typeEbEEZZNS1_14partition_implILS5_8ELb0ES3_jNS7_6detail15normal_iteratorINS7_10device_ptrISA_EEEEPSB_PKSB_NS0_5tupleIJSI_SB_EEENSM_IJSJ_SJ_EEENS0_18inequality_wrapperINS7_8equal_toISA_EEEEPmJSB_EEE10hipError_tPvRmT3_T4_T5_T6_T7_T9_mT8_P12ihipStream_tbDpT10_ENKUlT_T0_E_clISt17integral_constantIbLb0EES1C_IbLb1EEEEDaS18_S19_EUlS18_E_NS1_11comp_targetILNS1_3genE8ELNS1_11target_archE1030ELNS1_3gpuE2ELNS1_3repE0EEENS1_30default_config_static_selectorELNS0_4arch9wavefront6targetE1EEEvT1_ ; -- Begin function _ZN7rocprim17ROCPRIM_400000_NS6detail17trampoline_kernelINS0_14default_configENS1_25partition_config_selectorILNS1_17partition_subalgoE8EN6thrust23THRUST_200600_302600_NS5tupleIffNS7_9null_typeES9_S9_S9_S9_S9_S9_S9_EENS0_10empty_typeEbEEZZNS1_14partition_implILS5_8ELb0ES3_jNS7_6detail15normal_iteratorINS7_10device_ptrISA_EEEEPSB_PKSB_NS0_5tupleIJSI_SB_EEENSM_IJSJ_SJ_EEENS0_18inequality_wrapperINS7_8equal_toISA_EEEEPmJSB_EEE10hipError_tPvRmT3_T4_T5_T6_T7_T9_mT8_P12ihipStream_tbDpT10_ENKUlT_T0_E_clISt17integral_constantIbLb0EES1C_IbLb1EEEEDaS18_S19_EUlS18_E_NS1_11comp_targetILNS1_3genE8ELNS1_11target_archE1030ELNS1_3gpuE2ELNS1_3repE0EEENS1_30default_config_static_selectorELNS0_4arch9wavefront6targetE1EEEvT1_
	.globl	_ZN7rocprim17ROCPRIM_400000_NS6detail17trampoline_kernelINS0_14default_configENS1_25partition_config_selectorILNS1_17partition_subalgoE8EN6thrust23THRUST_200600_302600_NS5tupleIffNS7_9null_typeES9_S9_S9_S9_S9_S9_S9_EENS0_10empty_typeEbEEZZNS1_14partition_implILS5_8ELb0ES3_jNS7_6detail15normal_iteratorINS7_10device_ptrISA_EEEEPSB_PKSB_NS0_5tupleIJSI_SB_EEENSM_IJSJ_SJ_EEENS0_18inequality_wrapperINS7_8equal_toISA_EEEEPmJSB_EEE10hipError_tPvRmT3_T4_T5_T6_T7_T9_mT8_P12ihipStream_tbDpT10_ENKUlT_T0_E_clISt17integral_constantIbLb0EES1C_IbLb1EEEEDaS18_S19_EUlS18_E_NS1_11comp_targetILNS1_3genE8ELNS1_11target_archE1030ELNS1_3gpuE2ELNS1_3repE0EEENS1_30default_config_static_selectorELNS0_4arch9wavefront6targetE1EEEvT1_
	.p2align	8
	.type	_ZN7rocprim17ROCPRIM_400000_NS6detail17trampoline_kernelINS0_14default_configENS1_25partition_config_selectorILNS1_17partition_subalgoE8EN6thrust23THRUST_200600_302600_NS5tupleIffNS7_9null_typeES9_S9_S9_S9_S9_S9_S9_EENS0_10empty_typeEbEEZZNS1_14partition_implILS5_8ELb0ES3_jNS7_6detail15normal_iteratorINS7_10device_ptrISA_EEEEPSB_PKSB_NS0_5tupleIJSI_SB_EEENSM_IJSJ_SJ_EEENS0_18inequality_wrapperINS7_8equal_toISA_EEEEPmJSB_EEE10hipError_tPvRmT3_T4_T5_T6_T7_T9_mT8_P12ihipStream_tbDpT10_ENKUlT_T0_E_clISt17integral_constantIbLb0EES1C_IbLb1EEEEDaS18_S19_EUlS18_E_NS1_11comp_targetILNS1_3genE8ELNS1_11target_archE1030ELNS1_3gpuE2ELNS1_3repE0EEENS1_30default_config_static_selectorELNS0_4arch9wavefront6targetE1EEEvT1_,@function
_ZN7rocprim17ROCPRIM_400000_NS6detail17trampoline_kernelINS0_14default_configENS1_25partition_config_selectorILNS1_17partition_subalgoE8EN6thrust23THRUST_200600_302600_NS5tupleIffNS7_9null_typeES9_S9_S9_S9_S9_S9_S9_EENS0_10empty_typeEbEEZZNS1_14partition_implILS5_8ELb0ES3_jNS7_6detail15normal_iteratorINS7_10device_ptrISA_EEEEPSB_PKSB_NS0_5tupleIJSI_SB_EEENSM_IJSJ_SJ_EEENS0_18inequality_wrapperINS7_8equal_toISA_EEEEPmJSB_EEE10hipError_tPvRmT3_T4_T5_T6_T7_T9_mT8_P12ihipStream_tbDpT10_ENKUlT_T0_E_clISt17integral_constantIbLb0EES1C_IbLb1EEEEDaS18_S19_EUlS18_E_NS1_11comp_targetILNS1_3genE8ELNS1_11target_archE1030ELNS1_3gpuE2ELNS1_3repE0EEENS1_30default_config_static_selectorELNS0_4arch9wavefront6targetE1EEEvT1_: ; @_ZN7rocprim17ROCPRIM_400000_NS6detail17trampoline_kernelINS0_14default_configENS1_25partition_config_selectorILNS1_17partition_subalgoE8EN6thrust23THRUST_200600_302600_NS5tupleIffNS7_9null_typeES9_S9_S9_S9_S9_S9_S9_EENS0_10empty_typeEbEEZZNS1_14partition_implILS5_8ELb0ES3_jNS7_6detail15normal_iteratorINS7_10device_ptrISA_EEEEPSB_PKSB_NS0_5tupleIJSI_SB_EEENSM_IJSJ_SJ_EEENS0_18inequality_wrapperINS7_8equal_toISA_EEEEPmJSB_EEE10hipError_tPvRmT3_T4_T5_T6_T7_T9_mT8_P12ihipStream_tbDpT10_ENKUlT_T0_E_clISt17integral_constantIbLb0EES1C_IbLb1EEEEDaS18_S19_EUlS18_E_NS1_11comp_targetILNS1_3genE8ELNS1_11target_archE1030ELNS1_3gpuE2ELNS1_3repE0EEENS1_30default_config_static_selectorELNS0_4arch9wavefront6targetE1EEEvT1_
; %bb.0:
	.section	.rodata,"a",@progbits
	.p2align	6, 0x0
	.amdhsa_kernel _ZN7rocprim17ROCPRIM_400000_NS6detail17trampoline_kernelINS0_14default_configENS1_25partition_config_selectorILNS1_17partition_subalgoE8EN6thrust23THRUST_200600_302600_NS5tupleIffNS7_9null_typeES9_S9_S9_S9_S9_S9_S9_EENS0_10empty_typeEbEEZZNS1_14partition_implILS5_8ELb0ES3_jNS7_6detail15normal_iteratorINS7_10device_ptrISA_EEEEPSB_PKSB_NS0_5tupleIJSI_SB_EEENSM_IJSJ_SJ_EEENS0_18inequality_wrapperINS7_8equal_toISA_EEEEPmJSB_EEE10hipError_tPvRmT3_T4_T5_T6_T7_T9_mT8_P12ihipStream_tbDpT10_ENKUlT_T0_E_clISt17integral_constantIbLb0EES1C_IbLb1EEEEDaS18_S19_EUlS18_E_NS1_11comp_targetILNS1_3genE8ELNS1_11target_archE1030ELNS1_3gpuE2ELNS1_3repE0EEENS1_30default_config_static_selectorELNS0_4arch9wavefront6targetE1EEEvT1_
		.amdhsa_group_segment_fixed_size 0
		.amdhsa_private_segment_fixed_size 0
		.amdhsa_kernarg_size 128
		.amdhsa_user_sgpr_count 2
		.amdhsa_user_sgpr_dispatch_ptr 0
		.amdhsa_user_sgpr_queue_ptr 0
		.amdhsa_user_sgpr_kernarg_segment_ptr 1
		.amdhsa_user_sgpr_dispatch_id 0
		.amdhsa_user_sgpr_kernarg_preload_length 0
		.amdhsa_user_sgpr_kernarg_preload_offset 0
		.amdhsa_user_sgpr_private_segment_size 0
		.amdhsa_uses_dynamic_stack 0
		.amdhsa_enable_private_segment 0
		.amdhsa_system_sgpr_workgroup_id_x 1
		.amdhsa_system_sgpr_workgroup_id_y 0
		.amdhsa_system_sgpr_workgroup_id_z 0
		.amdhsa_system_sgpr_workgroup_info 0
		.amdhsa_system_vgpr_workitem_id 0
		.amdhsa_next_free_vgpr 1
		.amdhsa_next_free_sgpr 0
		.amdhsa_accum_offset 4
		.amdhsa_reserve_vcc 0
		.amdhsa_float_round_mode_32 0
		.amdhsa_float_round_mode_16_64 0
		.amdhsa_float_denorm_mode_32 3
		.amdhsa_float_denorm_mode_16_64 3
		.amdhsa_dx10_clamp 1
		.amdhsa_ieee_mode 1
		.amdhsa_fp16_overflow 0
		.amdhsa_tg_split 0
		.amdhsa_exception_fp_ieee_invalid_op 0
		.amdhsa_exception_fp_denorm_src 0
		.amdhsa_exception_fp_ieee_div_zero 0
		.amdhsa_exception_fp_ieee_overflow 0
		.amdhsa_exception_fp_ieee_underflow 0
		.amdhsa_exception_fp_ieee_inexact 0
		.amdhsa_exception_int_div_zero 0
	.end_amdhsa_kernel
	.section	.text._ZN7rocprim17ROCPRIM_400000_NS6detail17trampoline_kernelINS0_14default_configENS1_25partition_config_selectorILNS1_17partition_subalgoE8EN6thrust23THRUST_200600_302600_NS5tupleIffNS7_9null_typeES9_S9_S9_S9_S9_S9_S9_EENS0_10empty_typeEbEEZZNS1_14partition_implILS5_8ELb0ES3_jNS7_6detail15normal_iteratorINS7_10device_ptrISA_EEEEPSB_PKSB_NS0_5tupleIJSI_SB_EEENSM_IJSJ_SJ_EEENS0_18inequality_wrapperINS7_8equal_toISA_EEEEPmJSB_EEE10hipError_tPvRmT3_T4_T5_T6_T7_T9_mT8_P12ihipStream_tbDpT10_ENKUlT_T0_E_clISt17integral_constantIbLb0EES1C_IbLb1EEEEDaS18_S19_EUlS18_E_NS1_11comp_targetILNS1_3genE8ELNS1_11target_archE1030ELNS1_3gpuE2ELNS1_3repE0EEENS1_30default_config_static_selectorELNS0_4arch9wavefront6targetE1EEEvT1_,"axG",@progbits,_ZN7rocprim17ROCPRIM_400000_NS6detail17trampoline_kernelINS0_14default_configENS1_25partition_config_selectorILNS1_17partition_subalgoE8EN6thrust23THRUST_200600_302600_NS5tupleIffNS7_9null_typeES9_S9_S9_S9_S9_S9_S9_EENS0_10empty_typeEbEEZZNS1_14partition_implILS5_8ELb0ES3_jNS7_6detail15normal_iteratorINS7_10device_ptrISA_EEEEPSB_PKSB_NS0_5tupleIJSI_SB_EEENSM_IJSJ_SJ_EEENS0_18inequality_wrapperINS7_8equal_toISA_EEEEPmJSB_EEE10hipError_tPvRmT3_T4_T5_T6_T7_T9_mT8_P12ihipStream_tbDpT10_ENKUlT_T0_E_clISt17integral_constantIbLb0EES1C_IbLb1EEEEDaS18_S19_EUlS18_E_NS1_11comp_targetILNS1_3genE8ELNS1_11target_archE1030ELNS1_3gpuE2ELNS1_3repE0EEENS1_30default_config_static_selectorELNS0_4arch9wavefront6targetE1EEEvT1_,comdat
.Lfunc_end136:
	.size	_ZN7rocprim17ROCPRIM_400000_NS6detail17trampoline_kernelINS0_14default_configENS1_25partition_config_selectorILNS1_17partition_subalgoE8EN6thrust23THRUST_200600_302600_NS5tupleIffNS7_9null_typeES9_S9_S9_S9_S9_S9_S9_EENS0_10empty_typeEbEEZZNS1_14partition_implILS5_8ELb0ES3_jNS7_6detail15normal_iteratorINS7_10device_ptrISA_EEEEPSB_PKSB_NS0_5tupleIJSI_SB_EEENSM_IJSJ_SJ_EEENS0_18inequality_wrapperINS7_8equal_toISA_EEEEPmJSB_EEE10hipError_tPvRmT3_T4_T5_T6_T7_T9_mT8_P12ihipStream_tbDpT10_ENKUlT_T0_E_clISt17integral_constantIbLb0EES1C_IbLb1EEEEDaS18_S19_EUlS18_E_NS1_11comp_targetILNS1_3genE8ELNS1_11target_archE1030ELNS1_3gpuE2ELNS1_3repE0EEENS1_30default_config_static_selectorELNS0_4arch9wavefront6targetE1EEEvT1_, .Lfunc_end136-_ZN7rocprim17ROCPRIM_400000_NS6detail17trampoline_kernelINS0_14default_configENS1_25partition_config_selectorILNS1_17partition_subalgoE8EN6thrust23THRUST_200600_302600_NS5tupleIffNS7_9null_typeES9_S9_S9_S9_S9_S9_S9_EENS0_10empty_typeEbEEZZNS1_14partition_implILS5_8ELb0ES3_jNS7_6detail15normal_iteratorINS7_10device_ptrISA_EEEEPSB_PKSB_NS0_5tupleIJSI_SB_EEENSM_IJSJ_SJ_EEENS0_18inequality_wrapperINS7_8equal_toISA_EEEEPmJSB_EEE10hipError_tPvRmT3_T4_T5_T6_T7_T9_mT8_P12ihipStream_tbDpT10_ENKUlT_T0_E_clISt17integral_constantIbLb0EES1C_IbLb1EEEEDaS18_S19_EUlS18_E_NS1_11comp_targetILNS1_3genE8ELNS1_11target_archE1030ELNS1_3gpuE2ELNS1_3repE0EEENS1_30default_config_static_selectorELNS0_4arch9wavefront6targetE1EEEvT1_
                                        ; -- End function
	.section	.AMDGPU.csdata,"",@progbits
; Kernel info:
; codeLenInByte = 0
; NumSgprs: 6
; NumVgprs: 0
; NumAgprs: 0
; TotalNumVgprs: 0
; ScratchSize: 0
; MemoryBound: 0
; FloatMode: 240
; IeeeMode: 1
; LDSByteSize: 0 bytes/workgroup (compile time only)
; SGPRBlocks: 0
; VGPRBlocks: 0
; NumSGPRsForWavesPerEU: 6
; NumVGPRsForWavesPerEU: 1
; AccumOffset: 4
; Occupancy: 8
; WaveLimiterHint : 0
; COMPUTE_PGM_RSRC2:SCRATCH_EN: 0
; COMPUTE_PGM_RSRC2:USER_SGPR: 2
; COMPUTE_PGM_RSRC2:TRAP_HANDLER: 0
; COMPUTE_PGM_RSRC2:TGID_X_EN: 1
; COMPUTE_PGM_RSRC2:TGID_Y_EN: 0
; COMPUTE_PGM_RSRC2:TGID_Z_EN: 0
; COMPUTE_PGM_RSRC2:TIDIG_COMP_CNT: 0
; COMPUTE_PGM_RSRC3_GFX90A:ACCUM_OFFSET: 0
; COMPUTE_PGM_RSRC3_GFX90A:TG_SPLIT: 0
	.section	.text._ZN6thrust23THRUST_200600_302600_NS11hip_rocprim14__parallel_for6kernelILj256ENS1_10for_each_fINS0_12zip_iteratorINS0_5tupleINS0_6detail15normal_iteratorINS0_10device_ptrINS6_IffNS0_9null_typeESA_SA_SA_SA_SA_SA_SA_EEEEEENS0_7pointerISB_NS1_3tagENS0_11use_defaultESG_EESA_SA_SA_SA_SA_SA_SA_SA_EEEENS7_16wrapped_functionINS7_23allocator_traits_detail29copy_construct_with_allocatorINS7_18no_throw_allocatorINS7_19temporary_allocatorISB_SF_EEEESB_SB_EEvEEEElLj1EEEvT0_T1_SV_,"axG",@progbits,_ZN6thrust23THRUST_200600_302600_NS11hip_rocprim14__parallel_for6kernelILj256ENS1_10for_each_fINS0_12zip_iteratorINS0_5tupleINS0_6detail15normal_iteratorINS0_10device_ptrINS6_IffNS0_9null_typeESA_SA_SA_SA_SA_SA_SA_EEEEEENS0_7pointerISB_NS1_3tagENS0_11use_defaultESG_EESA_SA_SA_SA_SA_SA_SA_SA_EEEENS7_16wrapped_functionINS7_23allocator_traits_detail29copy_construct_with_allocatorINS7_18no_throw_allocatorINS7_19temporary_allocatorISB_SF_EEEESB_SB_EEvEEEElLj1EEEvT0_T1_SV_,comdat
	.protected	_ZN6thrust23THRUST_200600_302600_NS11hip_rocprim14__parallel_for6kernelILj256ENS1_10for_each_fINS0_12zip_iteratorINS0_5tupleINS0_6detail15normal_iteratorINS0_10device_ptrINS6_IffNS0_9null_typeESA_SA_SA_SA_SA_SA_SA_EEEEEENS0_7pointerISB_NS1_3tagENS0_11use_defaultESG_EESA_SA_SA_SA_SA_SA_SA_SA_EEEENS7_16wrapped_functionINS7_23allocator_traits_detail29copy_construct_with_allocatorINS7_18no_throw_allocatorINS7_19temporary_allocatorISB_SF_EEEESB_SB_EEvEEEElLj1EEEvT0_T1_SV_ ; -- Begin function _ZN6thrust23THRUST_200600_302600_NS11hip_rocprim14__parallel_for6kernelILj256ENS1_10for_each_fINS0_12zip_iteratorINS0_5tupleINS0_6detail15normal_iteratorINS0_10device_ptrINS6_IffNS0_9null_typeESA_SA_SA_SA_SA_SA_SA_EEEEEENS0_7pointerISB_NS1_3tagENS0_11use_defaultESG_EESA_SA_SA_SA_SA_SA_SA_SA_EEEENS7_16wrapped_functionINS7_23allocator_traits_detail29copy_construct_with_allocatorINS7_18no_throw_allocatorINS7_19temporary_allocatorISB_SF_EEEESB_SB_EEvEEEElLj1EEEvT0_T1_SV_
	.globl	_ZN6thrust23THRUST_200600_302600_NS11hip_rocprim14__parallel_for6kernelILj256ENS1_10for_each_fINS0_12zip_iteratorINS0_5tupleINS0_6detail15normal_iteratorINS0_10device_ptrINS6_IffNS0_9null_typeESA_SA_SA_SA_SA_SA_SA_EEEEEENS0_7pointerISB_NS1_3tagENS0_11use_defaultESG_EESA_SA_SA_SA_SA_SA_SA_SA_EEEENS7_16wrapped_functionINS7_23allocator_traits_detail29copy_construct_with_allocatorINS7_18no_throw_allocatorINS7_19temporary_allocatorISB_SF_EEEESB_SB_EEvEEEElLj1EEEvT0_T1_SV_
	.p2align	8
	.type	_ZN6thrust23THRUST_200600_302600_NS11hip_rocprim14__parallel_for6kernelILj256ENS1_10for_each_fINS0_12zip_iteratorINS0_5tupleINS0_6detail15normal_iteratorINS0_10device_ptrINS6_IffNS0_9null_typeESA_SA_SA_SA_SA_SA_SA_EEEEEENS0_7pointerISB_NS1_3tagENS0_11use_defaultESG_EESA_SA_SA_SA_SA_SA_SA_SA_EEEENS7_16wrapped_functionINS7_23allocator_traits_detail29copy_construct_with_allocatorINS7_18no_throw_allocatorINS7_19temporary_allocatorISB_SF_EEEESB_SB_EEvEEEElLj1EEEvT0_T1_SV_,@function
_ZN6thrust23THRUST_200600_302600_NS11hip_rocprim14__parallel_for6kernelILj256ENS1_10for_each_fINS0_12zip_iteratorINS0_5tupleINS0_6detail15normal_iteratorINS0_10device_ptrINS6_IffNS0_9null_typeESA_SA_SA_SA_SA_SA_SA_EEEEEENS0_7pointerISB_NS1_3tagENS0_11use_defaultESG_EESA_SA_SA_SA_SA_SA_SA_SA_EEEENS7_16wrapped_functionINS7_23allocator_traits_detail29copy_construct_with_allocatorINS7_18no_throw_allocatorINS7_19temporary_allocatorISB_SF_EEEESB_SB_EEvEEEElLj1EEEvT0_T1_SV_: ; @_ZN6thrust23THRUST_200600_302600_NS11hip_rocprim14__parallel_for6kernelILj256ENS1_10for_each_fINS0_12zip_iteratorINS0_5tupleINS0_6detail15normal_iteratorINS0_10device_ptrINS6_IffNS0_9null_typeESA_SA_SA_SA_SA_SA_SA_EEEEEENS0_7pointerISB_NS1_3tagENS0_11use_defaultESG_EESA_SA_SA_SA_SA_SA_SA_SA_EEEENS7_16wrapped_functionINS7_23allocator_traits_detail29copy_construct_with_allocatorINS7_18no_throw_allocatorINS7_19temporary_allocatorISB_SF_EEEESB_SB_EEvEEEElLj1EEEvT0_T1_SV_
; %bb.0:
	s_load_dwordx4 s[4:7], s[0:1], 0x18
	s_lshl_b32 s2, s2, 8
	v_mov_b64_e32 v[2:3], 0x100
	s_waitcnt lgkmcnt(0)
	s_add_u32 s2, s2, s6
	s_addc_u32 s3, 0, s7
	s_sub_u32 s4, s4, s2
	s_subb_u32 s5, s5, s3
	v_cmp_lt_i64_e32 vcc, s[4:5], v[2:3]
	s_and_b64 s[6:7], vcc, exec
	s_cselect_b32 s6, s4, 0x100
	s_cmpk_eq_i32 s6, 0x100
	s_cselect_b64 s[4:5], -1, 0
	v_cmp_gt_u32_e32 vcc, s6, v0
	s_or_b64 s[4:5], s[4:5], vcc
	s_and_saveexec_b64 s[6:7], s[4:5]
	s_cbranch_execz .LBB137_2
; %bb.1:
	s_load_dwordx4 s[4:7], s[0:1], 0x0
	v_mov_b32_e32 v1, 0
	v_lshl_add_u64 v[0:1], s[2:3], 0, v[0:1]
	v_lshlrev_b64 v[0:1], 3, v[0:1]
	s_waitcnt lgkmcnt(0)
	v_lshl_add_u64 v[2:3], s[4:5], 0, v[0:1]
	global_load_dwordx2 v[2:3], v[2:3], off
	v_lshl_add_u64 v[0:1], s[6:7], 0, v[0:1]
	s_waitcnt vmcnt(0)
	global_store_dwordx2 v[0:1], v[2:3], off
.LBB137_2:
	s_endpgm
	.section	.rodata,"a",@progbits
	.p2align	6, 0x0
	.amdhsa_kernel _ZN6thrust23THRUST_200600_302600_NS11hip_rocprim14__parallel_for6kernelILj256ENS1_10for_each_fINS0_12zip_iteratorINS0_5tupleINS0_6detail15normal_iteratorINS0_10device_ptrINS6_IffNS0_9null_typeESA_SA_SA_SA_SA_SA_SA_EEEEEENS0_7pointerISB_NS1_3tagENS0_11use_defaultESG_EESA_SA_SA_SA_SA_SA_SA_SA_EEEENS7_16wrapped_functionINS7_23allocator_traits_detail29copy_construct_with_allocatorINS7_18no_throw_allocatorINS7_19temporary_allocatorISB_SF_EEEESB_SB_EEvEEEElLj1EEEvT0_T1_SV_
		.amdhsa_group_segment_fixed_size 0
		.amdhsa_private_segment_fixed_size 0
		.amdhsa_kernarg_size 40
		.amdhsa_user_sgpr_count 2
		.amdhsa_user_sgpr_dispatch_ptr 0
		.amdhsa_user_sgpr_queue_ptr 0
		.amdhsa_user_sgpr_kernarg_segment_ptr 1
		.amdhsa_user_sgpr_dispatch_id 0
		.amdhsa_user_sgpr_kernarg_preload_length 0
		.amdhsa_user_sgpr_kernarg_preload_offset 0
		.amdhsa_user_sgpr_private_segment_size 0
		.amdhsa_uses_dynamic_stack 0
		.amdhsa_enable_private_segment 0
		.amdhsa_system_sgpr_workgroup_id_x 1
		.amdhsa_system_sgpr_workgroup_id_y 0
		.amdhsa_system_sgpr_workgroup_id_z 0
		.amdhsa_system_sgpr_workgroup_info 0
		.amdhsa_system_vgpr_workitem_id 0
		.amdhsa_next_free_vgpr 4
		.amdhsa_next_free_sgpr 8
		.amdhsa_accum_offset 4
		.amdhsa_reserve_vcc 1
		.amdhsa_float_round_mode_32 0
		.amdhsa_float_round_mode_16_64 0
		.amdhsa_float_denorm_mode_32 3
		.amdhsa_float_denorm_mode_16_64 3
		.amdhsa_dx10_clamp 1
		.amdhsa_ieee_mode 1
		.amdhsa_fp16_overflow 0
		.amdhsa_tg_split 0
		.amdhsa_exception_fp_ieee_invalid_op 0
		.amdhsa_exception_fp_denorm_src 0
		.amdhsa_exception_fp_ieee_div_zero 0
		.amdhsa_exception_fp_ieee_overflow 0
		.amdhsa_exception_fp_ieee_underflow 0
		.amdhsa_exception_fp_ieee_inexact 0
		.amdhsa_exception_int_div_zero 0
	.end_amdhsa_kernel
	.section	.text._ZN6thrust23THRUST_200600_302600_NS11hip_rocprim14__parallel_for6kernelILj256ENS1_10for_each_fINS0_12zip_iteratorINS0_5tupleINS0_6detail15normal_iteratorINS0_10device_ptrINS6_IffNS0_9null_typeESA_SA_SA_SA_SA_SA_SA_EEEEEENS0_7pointerISB_NS1_3tagENS0_11use_defaultESG_EESA_SA_SA_SA_SA_SA_SA_SA_EEEENS7_16wrapped_functionINS7_23allocator_traits_detail29copy_construct_with_allocatorINS7_18no_throw_allocatorINS7_19temporary_allocatorISB_SF_EEEESB_SB_EEvEEEElLj1EEEvT0_T1_SV_,"axG",@progbits,_ZN6thrust23THRUST_200600_302600_NS11hip_rocprim14__parallel_for6kernelILj256ENS1_10for_each_fINS0_12zip_iteratorINS0_5tupleINS0_6detail15normal_iteratorINS0_10device_ptrINS6_IffNS0_9null_typeESA_SA_SA_SA_SA_SA_SA_EEEEEENS0_7pointerISB_NS1_3tagENS0_11use_defaultESG_EESA_SA_SA_SA_SA_SA_SA_SA_EEEENS7_16wrapped_functionINS7_23allocator_traits_detail29copy_construct_with_allocatorINS7_18no_throw_allocatorINS7_19temporary_allocatorISB_SF_EEEESB_SB_EEvEEEElLj1EEEvT0_T1_SV_,comdat
.Lfunc_end137:
	.size	_ZN6thrust23THRUST_200600_302600_NS11hip_rocprim14__parallel_for6kernelILj256ENS1_10for_each_fINS0_12zip_iteratorINS0_5tupleINS0_6detail15normal_iteratorINS0_10device_ptrINS6_IffNS0_9null_typeESA_SA_SA_SA_SA_SA_SA_EEEEEENS0_7pointerISB_NS1_3tagENS0_11use_defaultESG_EESA_SA_SA_SA_SA_SA_SA_SA_EEEENS7_16wrapped_functionINS7_23allocator_traits_detail29copy_construct_with_allocatorINS7_18no_throw_allocatorINS7_19temporary_allocatorISB_SF_EEEESB_SB_EEvEEEElLj1EEEvT0_T1_SV_, .Lfunc_end137-_ZN6thrust23THRUST_200600_302600_NS11hip_rocprim14__parallel_for6kernelILj256ENS1_10for_each_fINS0_12zip_iteratorINS0_5tupleINS0_6detail15normal_iteratorINS0_10device_ptrINS6_IffNS0_9null_typeESA_SA_SA_SA_SA_SA_SA_EEEEEENS0_7pointerISB_NS1_3tagENS0_11use_defaultESG_EESA_SA_SA_SA_SA_SA_SA_SA_EEEENS7_16wrapped_functionINS7_23allocator_traits_detail29copy_construct_with_allocatorINS7_18no_throw_allocatorINS7_19temporary_allocatorISB_SF_EEEESB_SB_EEvEEEElLj1EEEvT0_T1_SV_
                                        ; -- End function
	.section	.AMDGPU.csdata,"",@progbits
; Kernel info:
; codeLenInByte = 152
; NumSgprs: 14
; NumVgprs: 4
; NumAgprs: 0
; TotalNumVgprs: 4
; ScratchSize: 0
; MemoryBound: 0
; FloatMode: 240
; IeeeMode: 1
; LDSByteSize: 0 bytes/workgroup (compile time only)
; SGPRBlocks: 1
; VGPRBlocks: 0
; NumSGPRsForWavesPerEU: 14
; NumVGPRsForWavesPerEU: 4
; AccumOffset: 4
; Occupancy: 8
; WaveLimiterHint : 0
; COMPUTE_PGM_RSRC2:SCRATCH_EN: 0
; COMPUTE_PGM_RSRC2:USER_SGPR: 2
; COMPUTE_PGM_RSRC2:TRAP_HANDLER: 0
; COMPUTE_PGM_RSRC2:TGID_X_EN: 1
; COMPUTE_PGM_RSRC2:TGID_Y_EN: 0
; COMPUTE_PGM_RSRC2:TGID_Z_EN: 0
; COMPUTE_PGM_RSRC2:TIDIG_COMP_CNT: 0
; COMPUTE_PGM_RSRC3_GFX90A:ACCUM_OFFSET: 0
; COMPUTE_PGM_RSRC3_GFX90A:TG_SPLIT: 0
	.section	.text._ZN6thrust23THRUST_200600_302600_NS11hip_rocprim14__parallel_for6kernelILj256ENS1_11__transform17unary_transform_fINS0_6detail15normal_iteratorINS0_7pointerINS0_5tupleIffNS0_9null_typeESA_SA_SA_SA_SA_SA_SA_EENS1_3tagENS0_11use_defaultESD_EEEENS7_INS0_10device_ptrISB_EEEENS4_14no_stencil_tagENS0_8identityISB_EENS4_21always_true_predicateEEElLj1EEEvT0_T1_SP_,"axG",@progbits,_ZN6thrust23THRUST_200600_302600_NS11hip_rocprim14__parallel_for6kernelILj256ENS1_11__transform17unary_transform_fINS0_6detail15normal_iteratorINS0_7pointerINS0_5tupleIffNS0_9null_typeESA_SA_SA_SA_SA_SA_SA_EENS1_3tagENS0_11use_defaultESD_EEEENS7_INS0_10device_ptrISB_EEEENS4_14no_stencil_tagENS0_8identityISB_EENS4_21always_true_predicateEEElLj1EEEvT0_T1_SP_,comdat
	.protected	_ZN6thrust23THRUST_200600_302600_NS11hip_rocprim14__parallel_for6kernelILj256ENS1_11__transform17unary_transform_fINS0_6detail15normal_iteratorINS0_7pointerINS0_5tupleIffNS0_9null_typeESA_SA_SA_SA_SA_SA_SA_EENS1_3tagENS0_11use_defaultESD_EEEENS7_INS0_10device_ptrISB_EEEENS4_14no_stencil_tagENS0_8identityISB_EENS4_21always_true_predicateEEElLj1EEEvT0_T1_SP_ ; -- Begin function _ZN6thrust23THRUST_200600_302600_NS11hip_rocprim14__parallel_for6kernelILj256ENS1_11__transform17unary_transform_fINS0_6detail15normal_iteratorINS0_7pointerINS0_5tupleIffNS0_9null_typeESA_SA_SA_SA_SA_SA_SA_EENS1_3tagENS0_11use_defaultESD_EEEENS7_INS0_10device_ptrISB_EEEENS4_14no_stencil_tagENS0_8identityISB_EENS4_21always_true_predicateEEElLj1EEEvT0_T1_SP_
	.globl	_ZN6thrust23THRUST_200600_302600_NS11hip_rocprim14__parallel_for6kernelILj256ENS1_11__transform17unary_transform_fINS0_6detail15normal_iteratorINS0_7pointerINS0_5tupleIffNS0_9null_typeESA_SA_SA_SA_SA_SA_SA_EENS1_3tagENS0_11use_defaultESD_EEEENS7_INS0_10device_ptrISB_EEEENS4_14no_stencil_tagENS0_8identityISB_EENS4_21always_true_predicateEEElLj1EEEvT0_T1_SP_
	.p2align	8
	.type	_ZN6thrust23THRUST_200600_302600_NS11hip_rocprim14__parallel_for6kernelILj256ENS1_11__transform17unary_transform_fINS0_6detail15normal_iteratorINS0_7pointerINS0_5tupleIffNS0_9null_typeESA_SA_SA_SA_SA_SA_SA_EENS1_3tagENS0_11use_defaultESD_EEEENS7_INS0_10device_ptrISB_EEEENS4_14no_stencil_tagENS0_8identityISB_EENS4_21always_true_predicateEEElLj1EEEvT0_T1_SP_,@function
_ZN6thrust23THRUST_200600_302600_NS11hip_rocprim14__parallel_for6kernelILj256ENS1_11__transform17unary_transform_fINS0_6detail15normal_iteratorINS0_7pointerINS0_5tupleIffNS0_9null_typeESA_SA_SA_SA_SA_SA_SA_EENS1_3tagENS0_11use_defaultESD_EEEENS7_INS0_10device_ptrISB_EEEENS4_14no_stencil_tagENS0_8identityISB_EENS4_21always_true_predicateEEElLj1EEEvT0_T1_SP_: ; @_ZN6thrust23THRUST_200600_302600_NS11hip_rocprim14__parallel_for6kernelILj256ENS1_11__transform17unary_transform_fINS0_6detail15normal_iteratorINS0_7pointerINS0_5tupleIffNS0_9null_typeESA_SA_SA_SA_SA_SA_SA_EENS1_3tagENS0_11use_defaultESD_EEEENS7_INS0_10device_ptrISB_EEEENS4_14no_stencil_tagENS0_8identityISB_EENS4_21always_true_predicateEEElLj1EEEvT0_T1_SP_
; %bb.0:
	s_load_dwordx4 s[8:11], s[0:1], 0x18
	s_load_dwordx4 s[4:7], s[0:1], 0x0
	s_lshl_b32 s0, s2, 8
	v_mov_b64_e32 v[2:3], 0x100
	s_waitcnt lgkmcnt(0)
	s_add_u32 s0, s0, s10
	s_addc_u32 s1, 0, s11
	s_sub_u32 s2, s8, s0
	s_subb_u32 s3, s9, s1
	v_cmp_lt_i64_e32 vcc, s[2:3], v[2:3]
	s_and_b64 s[8:9], vcc, exec
	s_cselect_b32 s8, s2, 0x100
	s_cmpk_lg_i32 s8, 0x100
	s_mov_b64 s[2:3], -1
	s_cbranch_scc1 .LBB138_3
; %bb.1:
	s_andn2_b64 vcc, exec, s[2:3]
	s_cbranch_vccz .LBB138_6
.LBB138_2:
	s_endpgm
.LBB138_3:
	v_cmp_gt_u32_e32 vcc, s8, v0
	s_and_saveexec_b64 s[2:3], vcc
	s_cbranch_execz .LBB138_5
; %bb.4:
	v_mov_b32_e32 v1, 0
	v_lshl_add_u64 v[2:3], s[0:1], 0, v[0:1]
	v_lshlrev_b64 v[2:3], 3, v[2:3]
	v_lshl_add_u64 v[4:5], s[4:5], 0, v[2:3]
	flat_load_dwordx2 v[4:5], v[4:5]
	v_lshl_add_u64 v[2:3], s[6:7], 0, v[2:3]
	s_waitcnt vmcnt(0) lgkmcnt(0)
	flat_store_dwordx2 v[2:3], v[4:5]
.LBB138_5:
	s_or_b64 exec, exec, s[2:3]
	s_cbranch_execnz .LBB138_2
.LBB138_6:
	v_mov_b32_e32 v1, 0
	v_lshl_add_u64 v[0:1], s[0:1], 0, v[0:1]
	v_lshlrev_b64 v[0:1], 3, v[0:1]
	v_lshl_add_u64 v[2:3], s[4:5], 0, v[0:1]
	flat_load_dwordx2 v[2:3], v[2:3]
	v_lshl_add_u64 v[0:1], s[6:7], 0, v[0:1]
	s_waitcnt vmcnt(0) lgkmcnt(0)
	flat_store_dwordx2 v[0:1], v[2:3]
	s_endpgm
	.section	.rodata,"a",@progbits
	.p2align	6, 0x0
	.amdhsa_kernel _ZN6thrust23THRUST_200600_302600_NS11hip_rocprim14__parallel_for6kernelILj256ENS1_11__transform17unary_transform_fINS0_6detail15normal_iteratorINS0_7pointerINS0_5tupleIffNS0_9null_typeESA_SA_SA_SA_SA_SA_SA_EENS1_3tagENS0_11use_defaultESD_EEEENS7_INS0_10device_ptrISB_EEEENS4_14no_stencil_tagENS0_8identityISB_EENS4_21always_true_predicateEEElLj1EEEvT0_T1_SP_
		.amdhsa_group_segment_fixed_size 0
		.amdhsa_private_segment_fixed_size 0
		.amdhsa_kernarg_size 40
		.amdhsa_user_sgpr_count 2
		.amdhsa_user_sgpr_dispatch_ptr 0
		.amdhsa_user_sgpr_queue_ptr 0
		.amdhsa_user_sgpr_kernarg_segment_ptr 1
		.amdhsa_user_sgpr_dispatch_id 0
		.amdhsa_user_sgpr_kernarg_preload_length 0
		.amdhsa_user_sgpr_kernarg_preload_offset 0
		.amdhsa_user_sgpr_private_segment_size 0
		.amdhsa_uses_dynamic_stack 0
		.amdhsa_enable_private_segment 0
		.amdhsa_system_sgpr_workgroup_id_x 1
		.amdhsa_system_sgpr_workgroup_id_y 0
		.amdhsa_system_sgpr_workgroup_id_z 0
		.amdhsa_system_sgpr_workgroup_info 0
		.amdhsa_system_vgpr_workitem_id 0
		.amdhsa_next_free_vgpr 6
		.amdhsa_next_free_sgpr 12
		.amdhsa_accum_offset 8
		.amdhsa_reserve_vcc 1
		.amdhsa_float_round_mode_32 0
		.amdhsa_float_round_mode_16_64 0
		.amdhsa_float_denorm_mode_32 3
		.amdhsa_float_denorm_mode_16_64 3
		.amdhsa_dx10_clamp 1
		.amdhsa_ieee_mode 1
		.amdhsa_fp16_overflow 0
		.amdhsa_tg_split 0
		.amdhsa_exception_fp_ieee_invalid_op 0
		.amdhsa_exception_fp_denorm_src 0
		.amdhsa_exception_fp_ieee_div_zero 0
		.amdhsa_exception_fp_ieee_overflow 0
		.amdhsa_exception_fp_ieee_underflow 0
		.amdhsa_exception_fp_ieee_inexact 0
		.amdhsa_exception_int_div_zero 0
	.end_amdhsa_kernel
	.section	.text._ZN6thrust23THRUST_200600_302600_NS11hip_rocprim14__parallel_for6kernelILj256ENS1_11__transform17unary_transform_fINS0_6detail15normal_iteratorINS0_7pointerINS0_5tupleIffNS0_9null_typeESA_SA_SA_SA_SA_SA_SA_EENS1_3tagENS0_11use_defaultESD_EEEENS7_INS0_10device_ptrISB_EEEENS4_14no_stencil_tagENS0_8identityISB_EENS4_21always_true_predicateEEElLj1EEEvT0_T1_SP_,"axG",@progbits,_ZN6thrust23THRUST_200600_302600_NS11hip_rocprim14__parallel_for6kernelILj256ENS1_11__transform17unary_transform_fINS0_6detail15normal_iteratorINS0_7pointerINS0_5tupleIffNS0_9null_typeESA_SA_SA_SA_SA_SA_SA_EENS1_3tagENS0_11use_defaultESD_EEEENS7_INS0_10device_ptrISB_EEEENS4_14no_stencil_tagENS0_8identityISB_EENS4_21always_true_predicateEEElLj1EEEvT0_T1_SP_,comdat
.Lfunc_end138:
	.size	_ZN6thrust23THRUST_200600_302600_NS11hip_rocprim14__parallel_for6kernelILj256ENS1_11__transform17unary_transform_fINS0_6detail15normal_iteratorINS0_7pointerINS0_5tupleIffNS0_9null_typeESA_SA_SA_SA_SA_SA_SA_EENS1_3tagENS0_11use_defaultESD_EEEENS7_INS0_10device_ptrISB_EEEENS4_14no_stencil_tagENS0_8identityISB_EENS4_21always_true_predicateEEElLj1EEEvT0_T1_SP_, .Lfunc_end138-_ZN6thrust23THRUST_200600_302600_NS11hip_rocprim14__parallel_for6kernelILj256ENS1_11__transform17unary_transform_fINS0_6detail15normal_iteratorINS0_7pointerINS0_5tupleIffNS0_9null_typeESA_SA_SA_SA_SA_SA_SA_EENS1_3tagENS0_11use_defaultESD_EEEENS7_INS0_10device_ptrISB_EEEENS4_14no_stencil_tagENS0_8identityISB_EENS4_21always_true_predicateEEElLj1EEEvT0_T1_SP_
                                        ; -- End function
	.section	.AMDGPU.csdata,"",@progbits
; Kernel info:
; codeLenInByte = 224
; NumSgprs: 18
; NumVgprs: 6
; NumAgprs: 0
; TotalNumVgprs: 6
; ScratchSize: 0
; MemoryBound: 0
; FloatMode: 240
; IeeeMode: 1
; LDSByteSize: 0 bytes/workgroup (compile time only)
; SGPRBlocks: 2
; VGPRBlocks: 0
; NumSGPRsForWavesPerEU: 18
; NumVGPRsForWavesPerEU: 6
; AccumOffset: 8
; Occupancy: 8
; WaveLimiterHint : 0
; COMPUTE_PGM_RSRC2:SCRATCH_EN: 0
; COMPUTE_PGM_RSRC2:USER_SGPR: 2
; COMPUTE_PGM_RSRC2:TRAP_HANDLER: 0
; COMPUTE_PGM_RSRC2:TGID_X_EN: 1
; COMPUTE_PGM_RSRC2:TGID_Y_EN: 0
; COMPUTE_PGM_RSRC2:TGID_Z_EN: 0
; COMPUTE_PGM_RSRC2:TIDIG_COMP_CNT: 0
; COMPUTE_PGM_RSRC3_GFX90A:ACCUM_OFFSET: 1
; COMPUTE_PGM_RSRC3_GFX90A:TG_SPLIT: 0
	.section	.text._ZN7rocprim17ROCPRIM_400000_NS6detail17trampoline_kernelINS0_14default_configENS1_27lower_bound_config_selectorIN6thrust23THRUST_200600_302600_NS5tupleIffNS6_9null_typeES8_S8_S8_S8_S8_S8_S8_EEjEEZNS1_14transform_implILb0ES3_SA_NS6_6detail15normal_iteratorINS6_10device_ptrIS9_EEEENSD_INSE_IjEEEEZNS1_13binary_searchIS3_SA_SG_SG_SI_NS1_21lower_bound_search_opENSC_16wrapped_functionINS0_4lessIvEEbEEEE10hipError_tPvRmT1_T2_T3_mmT4_T5_P12ihipStream_tbEUlRKS9_E_EESP_ST_SU_mSV_SY_bEUlT_E_NS1_11comp_targetILNS1_3genE0ELNS1_11target_archE4294967295ELNS1_3gpuE0ELNS1_3repE0EEENS1_30default_config_static_selectorELNS0_4arch9wavefront6targetE1EEEvSS_,"axG",@progbits,_ZN7rocprim17ROCPRIM_400000_NS6detail17trampoline_kernelINS0_14default_configENS1_27lower_bound_config_selectorIN6thrust23THRUST_200600_302600_NS5tupleIffNS6_9null_typeES8_S8_S8_S8_S8_S8_S8_EEjEEZNS1_14transform_implILb0ES3_SA_NS6_6detail15normal_iteratorINS6_10device_ptrIS9_EEEENSD_INSE_IjEEEEZNS1_13binary_searchIS3_SA_SG_SG_SI_NS1_21lower_bound_search_opENSC_16wrapped_functionINS0_4lessIvEEbEEEE10hipError_tPvRmT1_T2_T3_mmT4_T5_P12ihipStream_tbEUlRKS9_E_EESP_ST_SU_mSV_SY_bEUlT_E_NS1_11comp_targetILNS1_3genE0ELNS1_11target_archE4294967295ELNS1_3gpuE0ELNS1_3repE0EEENS1_30default_config_static_selectorELNS0_4arch9wavefront6targetE1EEEvSS_,comdat
	.protected	_ZN7rocprim17ROCPRIM_400000_NS6detail17trampoline_kernelINS0_14default_configENS1_27lower_bound_config_selectorIN6thrust23THRUST_200600_302600_NS5tupleIffNS6_9null_typeES8_S8_S8_S8_S8_S8_S8_EEjEEZNS1_14transform_implILb0ES3_SA_NS6_6detail15normal_iteratorINS6_10device_ptrIS9_EEEENSD_INSE_IjEEEEZNS1_13binary_searchIS3_SA_SG_SG_SI_NS1_21lower_bound_search_opENSC_16wrapped_functionINS0_4lessIvEEbEEEE10hipError_tPvRmT1_T2_T3_mmT4_T5_P12ihipStream_tbEUlRKS9_E_EESP_ST_SU_mSV_SY_bEUlT_E_NS1_11comp_targetILNS1_3genE0ELNS1_11target_archE4294967295ELNS1_3gpuE0ELNS1_3repE0EEENS1_30default_config_static_selectorELNS0_4arch9wavefront6targetE1EEEvSS_ ; -- Begin function _ZN7rocprim17ROCPRIM_400000_NS6detail17trampoline_kernelINS0_14default_configENS1_27lower_bound_config_selectorIN6thrust23THRUST_200600_302600_NS5tupleIffNS6_9null_typeES8_S8_S8_S8_S8_S8_S8_EEjEEZNS1_14transform_implILb0ES3_SA_NS6_6detail15normal_iteratorINS6_10device_ptrIS9_EEEENSD_INSE_IjEEEEZNS1_13binary_searchIS3_SA_SG_SG_SI_NS1_21lower_bound_search_opENSC_16wrapped_functionINS0_4lessIvEEbEEEE10hipError_tPvRmT1_T2_T3_mmT4_T5_P12ihipStream_tbEUlRKS9_E_EESP_ST_SU_mSV_SY_bEUlT_E_NS1_11comp_targetILNS1_3genE0ELNS1_11target_archE4294967295ELNS1_3gpuE0ELNS1_3repE0EEENS1_30default_config_static_selectorELNS0_4arch9wavefront6targetE1EEEvSS_
	.globl	_ZN7rocprim17ROCPRIM_400000_NS6detail17trampoline_kernelINS0_14default_configENS1_27lower_bound_config_selectorIN6thrust23THRUST_200600_302600_NS5tupleIffNS6_9null_typeES8_S8_S8_S8_S8_S8_S8_EEjEEZNS1_14transform_implILb0ES3_SA_NS6_6detail15normal_iteratorINS6_10device_ptrIS9_EEEENSD_INSE_IjEEEEZNS1_13binary_searchIS3_SA_SG_SG_SI_NS1_21lower_bound_search_opENSC_16wrapped_functionINS0_4lessIvEEbEEEE10hipError_tPvRmT1_T2_T3_mmT4_T5_P12ihipStream_tbEUlRKS9_E_EESP_ST_SU_mSV_SY_bEUlT_E_NS1_11comp_targetILNS1_3genE0ELNS1_11target_archE4294967295ELNS1_3gpuE0ELNS1_3repE0EEENS1_30default_config_static_selectorELNS0_4arch9wavefront6targetE1EEEvSS_
	.p2align	8
	.type	_ZN7rocprim17ROCPRIM_400000_NS6detail17trampoline_kernelINS0_14default_configENS1_27lower_bound_config_selectorIN6thrust23THRUST_200600_302600_NS5tupleIffNS6_9null_typeES8_S8_S8_S8_S8_S8_S8_EEjEEZNS1_14transform_implILb0ES3_SA_NS6_6detail15normal_iteratorINS6_10device_ptrIS9_EEEENSD_INSE_IjEEEEZNS1_13binary_searchIS3_SA_SG_SG_SI_NS1_21lower_bound_search_opENSC_16wrapped_functionINS0_4lessIvEEbEEEE10hipError_tPvRmT1_T2_T3_mmT4_T5_P12ihipStream_tbEUlRKS9_E_EESP_ST_SU_mSV_SY_bEUlT_E_NS1_11comp_targetILNS1_3genE0ELNS1_11target_archE4294967295ELNS1_3gpuE0ELNS1_3repE0EEENS1_30default_config_static_selectorELNS0_4arch9wavefront6targetE1EEEvSS_,@function
_ZN7rocprim17ROCPRIM_400000_NS6detail17trampoline_kernelINS0_14default_configENS1_27lower_bound_config_selectorIN6thrust23THRUST_200600_302600_NS5tupleIffNS6_9null_typeES8_S8_S8_S8_S8_S8_S8_EEjEEZNS1_14transform_implILb0ES3_SA_NS6_6detail15normal_iteratorINS6_10device_ptrIS9_EEEENSD_INSE_IjEEEEZNS1_13binary_searchIS3_SA_SG_SG_SI_NS1_21lower_bound_search_opENSC_16wrapped_functionINS0_4lessIvEEbEEEE10hipError_tPvRmT1_T2_T3_mmT4_T5_P12ihipStream_tbEUlRKS9_E_EESP_ST_SU_mSV_SY_bEUlT_E_NS1_11comp_targetILNS1_3genE0ELNS1_11target_archE4294967295ELNS1_3gpuE0ELNS1_3repE0EEENS1_30default_config_static_selectorELNS0_4arch9wavefront6targetE1EEEvSS_: ; @_ZN7rocprim17ROCPRIM_400000_NS6detail17trampoline_kernelINS0_14default_configENS1_27lower_bound_config_selectorIN6thrust23THRUST_200600_302600_NS5tupleIffNS6_9null_typeES8_S8_S8_S8_S8_S8_S8_EEjEEZNS1_14transform_implILb0ES3_SA_NS6_6detail15normal_iteratorINS6_10device_ptrIS9_EEEENSD_INSE_IjEEEEZNS1_13binary_searchIS3_SA_SG_SG_SI_NS1_21lower_bound_search_opENSC_16wrapped_functionINS0_4lessIvEEbEEEE10hipError_tPvRmT1_T2_T3_mmT4_T5_P12ihipStream_tbEUlRKS9_E_EESP_ST_SU_mSV_SY_bEUlT_E_NS1_11comp_targetILNS1_3genE0ELNS1_11target_archE4294967295ELNS1_3gpuE0ELNS1_3repE0EEENS1_30default_config_static_selectorELNS0_4arch9wavefront6targetE1EEEvSS_
; %bb.0:
	.section	.rodata,"a",@progbits
	.p2align	6, 0x0
	.amdhsa_kernel _ZN7rocprim17ROCPRIM_400000_NS6detail17trampoline_kernelINS0_14default_configENS1_27lower_bound_config_selectorIN6thrust23THRUST_200600_302600_NS5tupleIffNS6_9null_typeES8_S8_S8_S8_S8_S8_S8_EEjEEZNS1_14transform_implILb0ES3_SA_NS6_6detail15normal_iteratorINS6_10device_ptrIS9_EEEENSD_INSE_IjEEEEZNS1_13binary_searchIS3_SA_SG_SG_SI_NS1_21lower_bound_search_opENSC_16wrapped_functionINS0_4lessIvEEbEEEE10hipError_tPvRmT1_T2_T3_mmT4_T5_P12ihipStream_tbEUlRKS9_E_EESP_ST_SU_mSV_SY_bEUlT_E_NS1_11comp_targetILNS1_3genE0ELNS1_11target_archE4294967295ELNS1_3gpuE0ELNS1_3repE0EEENS1_30default_config_static_selectorELNS0_4arch9wavefront6targetE1EEEvSS_
		.amdhsa_group_segment_fixed_size 0
		.amdhsa_private_segment_fixed_size 0
		.amdhsa_kernarg_size 56
		.amdhsa_user_sgpr_count 2
		.amdhsa_user_sgpr_dispatch_ptr 0
		.amdhsa_user_sgpr_queue_ptr 0
		.amdhsa_user_sgpr_kernarg_segment_ptr 1
		.amdhsa_user_sgpr_dispatch_id 0
		.amdhsa_user_sgpr_kernarg_preload_length 0
		.amdhsa_user_sgpr_kernarg_preload_offset 0
		.amdhsa_user_sgpr_private_segment_size 0
		.amdhsa_uses_dynamic_stack 0
		.amdhsa_enable_private_segment 0
		.amdhsa_system_sgpr_workgroup_id_x 1
		.amdhsa_system_sgpr_workgroup_id_y 0
		.amdhsa_system_sgpr_workgroup_id_z 0
		.amdhsa_system_sgpr_workgroup_info 0
		.amdhsa_system_vgpr_workitem_id 0
		.amdhsa_next_free_vgpr 1
		.amdhsa_next_free_sgpr 0
		.amdhsa_accum_offset 4
		.amdhsa_reserve_vcc 0
		.amdhsa_float_round_mode_32 0
		.amdhsa_float_round_mode_16_64 0
		.amdhsa_float_denorm_mode_32 3
		.amdhsa_float_denorm_mode_16_64 3
		.amdhsa_dx10_clamp 1
		.amdhsa_ieee_mode 1
		.amdhsa_fp16_overflow 0
		.amdhsa_tg_split 0
		.amdhsa_exception_fp_ieee_invalid_op 0
		.amdhsa_exception_fp_denorm_src 0
		.amdhsa_exception_fp_ieee_div_zero 0
		.amdhsa_exception_fp_ieee_overflow 0
		.amdhsa_exception_fp_ieee_underflow 0
		.amdhsa_exception_fp_ieee_inexact 0
		.amdhsa_exception_int_div_zero 0
	.end_amdhsa_kernel
	.section	.text._ZN7rocprim17ROCPRIM_400000_NS6detail17trampoline_kernelINS0_14default_configENS1_27lower_bound_config_selectorIN6thrust23THRUST_200600_302600_NS5tupleIffNS6_9null_typeES8_S8_S8_S8_S8_S8_S8_EEjEEZNS1_14transform_implILb0ES3_SA_NS6_6detail15normal_iteratorINS6_10device_ptrIS9_EEEENSD_INSE_IjEEEEZNS1_13binary_searchIS3_SA_SG_SG_SI_NS1_21lower_bound_search_opENSC_16wrapped_functionINS0_4lessIvEEbEEEE10hipError_tPvRmT1_T2_T3_mmT4_T5_P12ihipStream_tbEUlRKS9_E_EESP_ST_SU_mSV_SY_bEUlT_E_NS1_11comp_targetILNS1_3genE0ELNS1_11target_archE4294967295ELNS1_3gpuE0ELNS1_3repE0EEENS1_30default_config_static_selectorELNS0_4arch9wavefront6targetE1EEEvSS_,"axG",@progbits,_ZN7rocprim17ROCPRIM_400000_NS6detail17trampoline_kernelINS0_14default_configENS1_27lower_bound_config_selectorIN6thrust23THRUST_200600_302600_NS5tupleIffNS6_9null_typeES8_S8_S8_S8_S8_S8_S8_EEjEEZNS1_14transform_implILb0ES3_SA_NS6_6detail15normal_iteratorINS6_10device_ptrIS9_EEEENSD_INSE_IjEEEEZNS1_13binary_searchIS3_SA_SG_SG_SI_NS1_21lower_bound_search_opENSC_16wrapped_functionINS0_4lessIvEEbEEEE10hipError_tPvRmT1_T2_T3_mmT4_T5_P12ihipStream_tbEUlRKS9_E_EESP_ST_SU_mSV_SY_bEUlT_E_NS1_11comp_targetILNS1_3genE0ELNS1_11target_archE4294967295ELNS1_3gpuE0ELNS1_3repE0EEENS1_30default_config_static_selectorELNS0_4arch9wavefront6targetE1EEEvSS_,comdat
.Lfunc_end139:
	.size	_ZN7rocprim17ROCPRIM_400000_NS6detail17trampoline_kernelINS0_14default_configENS1_27lower_bound_config_selectorIN6thrust23THRUST_200600_302600_NS5tupleIffNS6_9null_typeES8_S8_S8_S8_S8_S8_S8_EEjEEZNS1_14transform_implILb0ES3_SA_NS6_6detail15normal_iteratorINS6_10device_ptrIS9_EEEENSD_INSE_IjEEEEZNS1_13binary_searchIS3_SA_SG_SG_SI_NS1_21lower_bound_search_opENSC_16wrapped_functionINS0_4lessIvEEbEEEE10hipError_tPvRmT1_T2_T3_mmT4_T5_P12ihipStream_tbEUlRKS9_E_EESP_ST_SU_mSV_SY_bEUlT_E_NS1_11comp_targetILNS1_3genE0ELNS1_11target_archE4294967295ELNS1_3gpuE0ELNS1_3repE0EEENS1_30default_config_static_selectorELNS0_4arch9wavefront6targetE1EEEvSS_, .Lfunc_end139-_ZN7rocprim17ROCPRIM_400000_NS6detail17trampoline_kernelINS0_14default_configENS1_27lower_bound_config_selectorIN6thrust23THRUST_200600_302600_NS5tupleIffNS6_9null_typeES8_S8_S8_S8_S8_S8_S8_EEjEEZNS1_14transform_implILb0ES3_SA_NS6_6detail15normal_iteratorINS6_10device_ptrIS9_EEEENSD_INSE_IjEEEEZNS1_13binary_searchIS3_SA_SG_SG_SI_NS1_21lower_bound_search_opENSC_16wrapped_functionINS0_4lessIvEEbEEEE10hipError_tPvRmT1_T2_T3_mmT4_T5_P12ihipStream_tbEUlRKS9_E_EESP_ST_SU_mSV_SY_bEUlT_E_NS1_11comp_targetILNS1_3genE0ELNS1_11target_archE4294967295ELNS1_3gpuE0ELNS1_3repE0EEENS1_30default_config_static_selectorELNS0_4arch9wavefront6targetE1EEEvSS_
                                        ; -- End function
	.section	.AMDGPU.csdata,"",@progbits
; Kernel info:
; codeLenInByte = 0
; NumSgprs: 6
; NumVgprs: 0
; NumAgprs: 0
; TotalNumVgprs: 0
; ScratchSize: 0
; MemoryBound: 0
; FloatMode: 240
; IeeeMode: 1
; LDSByteSize: 0 bytes/workgroup (compile time only)
; SGPRBlocks: 0
; VGPRBlocks: 0
; NumSGPRsForWavesPerEU: 6
; NumVGPRsForWavesPerEU: 1
; AccumOffset: 4
; Occupancy: 8
; WaveLimiterHint : 0
; COMPUTE_PGM_RSRC2:SCRATCH_EN: 0
; COMPUTE_PGM_RSRC2:USER_SGPR: 2
; COMPUTE_PGM_RSRC2:TRAP_HANDLER: 0
; COMPUTE_PGM_RSRC2:TGID_X_EN: 1
; COMPUTE_PGM_RSRC2:TGID_Y_EN: 0
; COMPUTE_PGM_RSRC2:TGID_Z_EN: 0
; COMPUTE_PGM_RSRC2:TIDIG_COMP_CNT: 0
; COMPUTE_PGM_RSRC3_GFX90A:ACCUM_OFFSET: 0
; COMPUTE_PGM_RSRC3_GFX90A:TG_SPLIT: 0
	.section	.text._ZN7rocprim17ROCPRIM_400000_NS6detail17trampoline_kernelINS0_14default_configENS1_27lower_bound_config_selectorIN6thrust23THRUST_200600_302600_NS5tupleIffNS6_9null_typeES8_S8_S8_S8_S8_S8_S8_EEjEEZNS1_14transform_implILb0ES3_SA_NS6_6detail15normal_iteratorINS6_10device_ptrIS9_EEEENSD_INSE_IjEEEEZNS1_13binary_searchIS3_SA_SG_SG_SI_NS1_21lower_bound_search_opENSC_16wrapped_functionINS0_4lessIvEEbEEEE10hipError_tPvRmT1_T2_T3_mmT4_T5_P12ihipStream_tbEUlRKS9_E_EESP_ST_SU_mSV_SY_bEUlT_E_NS1_11comp_targetILNS1_3genE5ELNS1_11target_archE942ELNS1_3gpuE9ELNS1_3repE0EEENS1_30default_config_static_selectorELNS0_4arch9wavefront6targetE1EEEvSS_,"axG",@progbits,_ZN7rocprim17ROCPRIM_400000_NS6detail17trampoline_kernelINS0_14default_configENS1_27lower_bound_config_selectorIN6thrust23THRUST_200600_302600_NS5tupleIffNS6_9null_typeES8_S8_S8_S8_S8_S8_S8_EEjEEZNS1_14transform_implILb0ES3_SA_NS6_6detail15normal_iteratorINS6_10device_ptrIS9_EEEENSD_INSE_IjEEEEZNS1_13binary_searchIS3_SA_SG_SG_SI_NS1_21lower_bound_search_opENSC_16wrapped_functionINS0_4lessIvEEbEEEE10hipError_tPvRmT1_T2_T3_mmT4_T5_P12ihipStream_tbEUlRKS9_E_EESP_ST_SU_mSV_SY_bEUlT_E_NS1_11comp_targetILNS1_3genE5ELNS1_11target_archE942ELNS1_3gpuE9ELNS1_3repE0EEENS1_30default_config_static_selectorELNS0_4arch9wavefront6targetE1EEEvSS_,comdat
	.protected	_ZN7rocprim17ROCPRIM_400000_NS6detail17trampoline_kernelINS0_14default_configENS1_27lower_bound_config_selectorIN6thrust23THRUST_200600_302600_NS5tupleIffNS6_9null_typeES8_S8_S8_S8_S8_S8_S8_EEjEEZNS1_14transform_implILb0ES3_SA_NS6_6detail15normal_iteratorINS6_10device_ptrIS9_EEEENSD_INSE_IjEEEEZNS1_13binary_searchIS3_SA_SG_SG_SI_NS1_21lower_bound_search_opENSC_16wrapped_functionINS0_4lessIvEEbEEEE10hipError_tPvRmT1_T2_T3_mmT4_T5_P12ihipStream_tbEUlRKS9_E_EESP_ST_SU_mSV_SY_bEUlT_E_NS1_11comp_targetILNS1_3genE5ELNS1_11target_archE942ELNS1_3gpuE9ELNS1_3repE0EEENS1_30default_config_static_selectorELNS0_4arch9wavefront6targetE1EEEvSS_ ; -- Begin function _ZN7rocprim17ROCPRIM_400000_NS6detail17trampoline_kernelINS0_14default_configENS1_27lower_bound_config_selectorIN6thrust23THRUST_200600_302600_NS5tupleIffNS6_9null_typeES8_S8_S8_S8_S8_S8_S8_EEjEEZNS1_14transform_implILb0ES3_SA_NS6_6detail15normal_iteratorINS6_10device_ptrIS9_EEEENSD_INSE_IjEEEEZNS1_13binary_searchIS3_SA_SG_SG_SI_NS1_21lower_bound_search_opENSC_16wrapped_functionINS0_4lessIvEEbEEEE10hipError_tPvRmT1_T2_T3_mmT4_T5_P12ihipStream_tbEUlRKS9_E_EESP_ST_SU_mSV_SY_bEUlT_E_NS1_11comp_targetILNS1_3genE5ELNS1_11target_archE942ELNS1_3gpuE9ELNS1_3repE0EEENS1_30default_config_static_selectorELNS0_4arch9wavefront6targetE1EEEvSS_
	.globl	_ZN7rocprim17ROCPRIM_400000_NS6detail17trampoline_kernelINS0_14default_configENS1_27lower_bound_config_selectorIN6thrust23THRUST_200600_302600_NS5tupleIffNS6_9null_typeES8_S8_S8_S8_S8_S8_S8_EEjEEZNS1_14transform_implILb0ES3_SA_NS6_6detail15normal_iteratorINS6_10device_ptrIS9_EEEENSD_INSE_IjEEEEZNS1_13binary_searchIS3_SA_SG_SG_SI_NS1_21lower_bound_search_opENSC_16wrapped_functionINS0_4lessIvEEbEEEE10hipError_tPvRmT1_T2_T3_mmT4_T5_P12ihipStream_tbEUlRKS9_E_EESP_ST_SU_mSV_SY_bEUlT_E_NS1_11comp_targetILNS1_3genE5ELNS1_11target_archE942ELNS1_3gpuE9ELNS1_3repE0EEENS1_30default_config_static_selectorELNS0_4arch9wavefront6targetE1EEEvSS_
	.p2align	8
	.type	_ZN7rocprim17ROCPRIM_400000_NS6detail17trampoline_kernelINS0_14default_configENS1_27lower_bound_config_selectorIN6thrust23THRUST_200600_302600_NS5tupleIffNS6_9null_typeES8_S8_S8_S8_S8_S8_S8_EEjEEZNS1_14transform_implILb0ES3_SA_NS6_6detail15normal_iteratorINS6_10device_ptrIS9_EEEENSD_INSE_IjEEEEZNS1_13binary_searchIS3_SA_SG_SG_SI_NS1_21lower_bound_search_opENSC_16wrapped_functionINS0_4lessIvEEbEEEE10hipError_tPvRmT1_T2_T3_mmT4_T5_P12ihipStream_tbEUlRKS9_E_EESP_ST_SU_mSV_SY_bEUlT_E_NS1_11comp_targetILNS1_3genE5ELNS1_11target_archE942ELNS1_3gpuE9ELNS1_3repE0EEENS1_30default_config_static_selectorELNS0_4arch9wavefront6targetE1EEEvSS_,@function
_ZN7rocprim17ROCPRIM_400000_NS6detail17trampoline_kernelINS0_14default_configENS1_27lower_bound_config_selectorIN6thrust23THRUST_200600_302600_NS5tupleIffNS6_9null_typeES8_S8_S8_S8_S8_S8_S8_EEjEEZNS1_14transform_implILb0ES3_SA_NS6_6detail15normal_iteratorINS6_10device_ptrIS9_EEEENSD_INSE_IjEEEEZNS1_13binary_searchIS3_SA_SG_SG_SI_NS1_21lower_bound_search_opENSC_16wrapped_functionINS0_4lessIvEEbEEEE10hipError_tPvRmT1_T2_T3_mmT4_T5_P12ihipStream_tbEUlRKS9_E_EESP_ST_SU_mSV_SY_bEUlT_E_NS1_11comp_targetILNS1_3genE5ELNS1_11target_archE942ELNS1_3gpuE9ELNS1_3repE0EEENS1_30default_config_static_selectorELNS0_4arch9wavefront6targetE1EEEvSS_: ; @_ZN7rocprim17ROCPRIM_400000_NS6detail17trampoline_kernelINS0_14default_configENS1_27lower_bound_config_selectorIN6thrust23THRUST_200600_302600_NS5tupleIffNS6_9null_typeES8_S8_S8_S8_S8_S8_S8_EEjEEZNS1_14transform_implILb0ES3_SA_NS6_6detail15normal_iteratorINS6_10device_ptrIS9_EEEENSD_INSE_IjEEEEZNS1_13binary_searchIS3_SA_SG_SG_SI_NS1_21lower_bound_search_opENSC_16wrapped_functionINS0_4lessIvEEbEEEE10hipError_tPvRmT1_T2_T3_mmT4_T5_P12ihipStream_tbEUlRKS9_E_EESP_ST_SU_mSV_SY_bEUlT_E_NS1_11comp_targetILNS1_3genE5ELNS1_11target_archE942ELNS1_3gpuE9ELNS1_3repE0EEENS1_30default_config_static_selectorELNS0_4arch9wavefront6targetE1EEEvSS_
; %bb.0:
	s_load_dwordx4 s[12:15], s[0:1], 0x0
	s_load_dwordx4 s[4:7], s[0:1], 0x18
	s_load_dwordx2 s[8:9], s[0:1], 0x28
	s_load_dword s3, s[0:1], 0x38
	s_waitcnt lgkmcnt(0)
	s_lshl_b64 s[10:11], s[14:15], 3
	s_add_u32 s20, s12, s10
	s_addc_u32 s21, s13, s11
	s_lshl_b64 s[10:11], s[14:15], 2
	s_add_u32 s18, s4, s10
	s_addc_u32 s19, s5, s11
	s_lshl_b32 s4, s2, 6
	s_add_i32 s3, s3, -1
	s_mov_b32 s5, 0
	s_cmp_lg_u32 s2, s3
	s_mov_b64 s[2:3], -1
	s_cbranch_scc0 .LBB140_10
; %bb.1:
	v_mov_b32_e32 v2, 0
	s_cmp_eq_u64 s[8:9], 0
	s_mov_b64 s[2:3], 0
	s_cbranch_scc1 .LBB140_9
; %bb.2:
	s_lshl_b64 s[10:11], s[4:5], 3
	s_add_u32 s10, s20, s10
	s_addc_u32 s11, s21, s11
	v_lshlrev_b32_e32 v2, 3, v0
	v_mov_b32_e32 v3, 0
	v_lshl_add_u64 v[2:3], s[10:11], 0, v[2:3]
	flat_load_dwordx2 v[4:5], v[2:3]
	v_mov_b64_e32 v[2:3], 0
	v_mov_b64_e32 v[6:7], s[8:9]
                                        ; implicit-def: $sgpr10_sgpr11
	s_branch .LBB140_5
.LBB140_3:                              ;   in Loop: Header=BB140_5 Depth=1
	s_or_b64 exec, exec, s[16:17]
	s_andn2_b64 s[10:11], s[10:11], exec
	s_and_b64 s[14:15], s[14:15], exec
	s_or_b64 s[10:11], s[10:11], s[14:15]
.LBB140_4:                              ;   in Loop: Header=BB140_5 Depth=1
	s_or_b64 exec, exec, s[12:13]
	v_lshl_add_u64 v[10:11], v[8:9], 0, 1
	v_cndmask_b32_e64 v7, v9, v7, s[10:11]
	v_cndmask_b32_e64 v6, v8, v6, s[10:11]
	;; [unrolled: 1-line block ×4, first 2 shown]
	v_cmp_ge_u64_e32 vcc, v[2:3], v[6:7]
	s_or_b64 s[2:3], vcc, s[2:3]
	s_andn2_b64 exec, exec, s[2:3]
	s_cbranch_execz .LBB140_8
.LBB140_5:                              ; =>This Inner Loop Header: Depth=1
	v_sub_co_u32_e32 v8, vcc, v6, v2
	s_or_b64 s[10:11], s[10:11], exec
	s_nop 0
	v_subb_co_u32_e32 v9, vcc, v7, v3, vcc
	v_lshrrev_b64 v[10:11], 1, v[8:9]
	v_lshl_add_u64 v[10:11], v[10:11], 0, v[2:3]
	v_lshrrev_b64 v[8:9], 6, v[8:9]
	v_lshl_add_u64 v[8:9], v[10:11], 0, v[8:9]
	v_lshl_add_u64 v[10:11], v[8:9], 3, s[6:7]
	global_load_dword v1, v[10:11], off
	s_waitcnt vmcnt(0) lgkmcnt(0)
	v_cmp_nlt_f32_e32 vcc, v1, v4
	s_and_saveexec_b64 s[12:13], vcc
	s_cbranch_execz .LBB140_4
; %bb.6:                                ;   in Loop: Header=BB140_5 Depth=1
	v_cmp_ngt_f32_e32 vcc, v1, v4
	s_mov_b64 s[14:15], 0
	s_and_saveexec_b64 s[16:17], vcc
	s_cbranch_execz .LBB140_3
; %bb.7:                                ;   in Loop: Header=BB140_5 Depth=1
	global_load_dword v1, v[10:11], off offset:4
	s_waitcnt vmcnt(0)
	v_cmp_lt_f32_e32 vcc, v1, v5
	s_and_b64 s[14:15], vcc, exec
	s_branch .LBB140_3
.LBB140_8:
	s_or_b64 exec, exec, s[2:3]
.LBB140_9:
	s_lshl_b64 s[2:3], s[4:5], 2
	s_add_u32 s2, s18, s2
	s_addc_u32 s3, s19, s3
	v_lshlrev_b32_e32 v4, 2, v0
	v_mov_b32_e32 v5, 0
	v_lshl_add_u64 v[4:5], s[2:3], 0, v[4:5]
	s_mov_b64 s[2:3], 0
	flat_store_dword v[4:5], v2
.LBB140_10:
	s_and_b64 vcc, exec, s[2:3]
	s_cbranch_vccz .LBB140_22
; %bb.11:
	s_load_dword s0, s[0:1], 0x10
                                        ; implicit-def: $vgpr2
	s_waitcnt lgkmcnt(0)
	s_sub_i32 s0, s0, s4
	v_cmp_gt_u32_e32 vcc, s0, v0
	s_and_saveexec_b64 s[2:3], vcc
	s_cbranch_execz .LBB140_20
; %bb.12:
	s_cmp_eq_u64 s[8:9], 0
	s_mov_b64 s[10:11], 0
	s_cbranch_scc1 .LBB140_23
; %bb.13:
	s_lshl_b64 s[0:1], s[4:5], 3
	s_add_u32 s0, s20, s0
	s_addc_u32 s1, s21, s1
	v_lshlrev_b32_e32 v2, 3, v0
	v_mov_b32_e32 v3, 0
	v_lshl_add_u64 v[2:3], s[0:1], 0, v[2:3]
	flat_load_dwordx2 v[4:5], v[2:3]
	v_mov_b64_e32 v[2:3], 0
	v_mov_b64_e32 v[6:7], s[8:9]
                                        ; implicit-def: $sgpr8_sgpr9
	s_branch .LBB140_16
.LBB140_14:                             ;   in Loop: Header=BB140_16 Depth=1
	s_or_b64 exec, exec, s[16:17]
	s_andn2_b64 s[0:1], s[8:9], exec
	s_and_b64 s[8:9], s[14:15], exec
	s_or_b64 s[8:9], s[0:1], s[8:9]
.LBB140_15:                             ;   in Loop: Header=BB140_16 Depth=1
	s_or_b64 exec, exec, s[12:13]
	v_lshl_add_u64 v[10:11], v[8:9], 0, 1
	v_cndmask_b32_e64 v7, v9, v7, s[8:9]
	v_cndmask_b32_e64 v6, v8, v6, s[8:9]
	;; [unrolled: 1-line block ×4, first 2 shown]
	v_cmp_ge_u64_e64 s[0:1], v[2:3], v[6:7]
	s_or_b64 s[10:11], s[0:1], s[10:11]
	s_andn2_b64 exec, exec, s[10:11]
	s_cbranch_execz .LBB140_19
.LBB140_16:                             ; =>This Inner Loop Header: Depth=1
	v_sub_co_u32_e64 v8, s[0:1], v6, v2
	s_or_b64 s[8:9], s[8:9], exec
	s_nop 0
	v_subb_co_u32_e64 v9, s[0:1], v7, v3, s[0:1]
	v_lshrrev_b64 v[10:11], 1, v[8:9]
	v_lshl_add_u64 v[10:11], v[10:11], 0, v[2:3]
	v_lshrrev_b64 v[8:9], 6, v[8:9]
	v_lshl_add_u64 v[8:9], v[10:11], 0, v[8:9]
	v_lshl_add_u64 v[10:11], v[8:9], 3, s[6:7]
	global_load_dword v1, v[10:11], off
	s_waitcnt vmcnt(0) lgkmcnt(0)
	v_cmp_nlt_f32_e64 s[0:1], v1, v4
	s_and_saveexec_b64 s[12:13], s[0:1]
	s_cbranch_execz .LBB140_15
; %bb.17:                               ;   in Loop: Header=BB140_16 Depth=1
	v_cmp_ngt_f32_e64 s[0:1], v1, v4
	s_mov_b64 s[14:15], 0
	s_and_saveexec_b64 s[16:17], s[0:1]
	s_cbranch_execz .LBB140_14
; %bb.18:                               ;   in Loop: Header=BB140_16 Depth=1
	global_load_dword v1, v[10:11], off offset:4
	s_waitcnt vmcnt(0)
	v_cmp_lt_f32_e64 s[0:1], v1, v5
	s_and_b64 s[14:15], s[0:1], exec
	s_branch .LBB140_14
.LBB140_19:
	s_or_b64 exec, exec, s[10:11]
.LBB140_20:
	s_or_b64 exec, exec, s[2:3]
	s_and_saveexec_b64 s[0:1], vcc
	s_cbranch_execz .LBB140_22
.LBB140_21:
	s_lshl_b64 s[0:1], s[4:5], 2
	s_add_u32 s0, s18, s0
	s_addc_u32 s1, s19, s1
	v_lshlrev_b32_e32 v0, 2, v0
	v_mov_b32_e32 v1, 0
	v_lshl_add_u64 v[0:1], s[0:1], 0, v[0:1]
	flat_store_dword v[0:1], v2
.LBB140_22:
	s_endpgm
.LBB140_23:
	v_mov_b32_e32 v2, 0
	s_or_b64 exec, exec, s[2:3]
	s_and_saveexec_b64 s[0:1], vcc
	s_cbranch_execnz .LBB140_21
	s_branch .LBB140_22
	.section	.rodata,"a",@progbits
	.p2align	6, 0x0
	.amdhsa_kernel _ZN7rocprim17ROCPRIM_400000_NS6detail17trampoline_kernelINS0_14default_configENS1_27lower_bound_config_selectorIN6thrust23THRUST_200600_302600_NS5tupleIffNS6_9null_typeES8_S8_S8_S8_S8_S8_S8_EEjEEZNS1_14transform_implILb0ES3_SA_NS6_6detail15normal_iteratorINS6_10device_ptrIS9_EEEENSD_INSE_IjEEEEZNS1_13binary_searchIS3_SA_SG_SG_SI_NS1_21lower_bound_search_opENSC_16wrapped_functionINS0_4lessIvEEbEEEE10hipError_tPvRmT1_T2_T3_mmT4_T5_P12ihipStream_tbEUlRKS9_E_EESP_ST_SU_mSV_SY_bEUlT_E_NS1_11comp_targetILNS1_3genE5ELNS1_11target_archE942ELNS1_3gpuE9ELNS1_3repE0EEENS1_30default_config_static_selectorELNS0_4arch9wavefront6targetE1EEEvSS_
		.amdhsa_group_segment_fixed_size 0
		.amdhsa_private_segment_fixed_size 0
		.amdhsa_kernarg_size 312
		.amdhsa_user_sgpr_count 2
		.amdhsa_user_sgpr_dispatch_ptr 0
		.amdhsa_user_sgpr_queue_ptr 0
		.amdhsa_user_sgpr_kernarg_segment_ptr 1
		.amdhsa_user_sgpr_dispatch_id 0
		.amdhsa_user_sgpr_kernarg_preload_length 0
		.amdhsa_user_sgpr_kernarg_preload_offset 0
		.amdhsa_user_sgpr_private_segment_size 0
		.amdhsa_uses_dynamic_stack 0
		.amdhsa_enable_private_segment 0
		.amdhsa_system_sgpr_workgroup_id_x 1
		.amdhsa_system_sgpr_workgroup_id_y 0
		.amdhsa_system_sgpr_workgroup_id_z 0
		.amdhsa_system_sgpr_workgroup_info 0
		.amdhsa_system_vgpr_workitem_id 0
		.amdhsa_next_free_vgpr 12
		.amdhsa_next_free_sgpr 22
		.amdhsa_accum_offset 12
		.amdhsa_reserve_vcc 1
		.amdhsa_float_round_mode_32 0
		.amdhsa_float_round_mode_16_64 0
		.amdhsa_float_denorm_mode_32 3
		.amdhsa_float_denorm_mode_16_64 3
		.amdhsa_dx10_clamp 1
		.amdhsa_ieee_mode 1
		.amdhsa_fp16_overflow 0
		.amdhsa_tg_split 0
		.amdhsa_exception_fp_ieee_invalid_op 0
		.amdhsa_exception_fp_denorm_src 0
		.amdhsa_exception_fp_ieee_div_zero 0
		.amdhsa_exception_fp_ieee_overflow 0
		.amdhsa_exception_fp_ieee_underflow 0
		.amdhsa_exception_fp_ieee_inexact 0
		.amdhsa_exception_int_div_zero 0
	.end_amdhsa_kernel
	.section	.text._ZN7rocprim17ROCPRIM_400000_NS6detail17trampoline_kernelINS0_14default_configENS1_27lower_bound_config_selectorIN6thrust23THRUST_200600_302600_NS5tupleIffNS6_9null_typeES8_S8_S8_S8_S8_S8_S8_EEjEEZNS1_14transform_implILb0ES3_SA_NS6_6detail15normal_iteratorINS6_10device_ptrIS9_EEEENSD_INSE_IjEEEEZNS1_13binary_searchIS3_SA_SG_SG_SI_NS1_21lower_bound_search_opENSC_16wrapped_functionINS0_4lessIvEEbEEEE10hipError_tPvRmT1_T2_T3_mmT4_T5_P12ihipStream_tbEUlRKS9_E_EESP_ST_SU_mSV_SY_bEUlT_E_NS1_11comp_targetILNS1_3genE5ELNS1_11target_archE942ELNS1_3gpuE9ELNS1_3repE0EEENS1_30default_config_static_selectorELNS0_4arch9wavefront6targetE1EEEvSS_,"axG",@progbits,_ZN7rocprim17ROCPRIM_400000_NS6detail17trampoline_kernelINS0_14default_configENS1_27lower_bound_config_selectorIN6thrust23THRUST_200600_302600_NS5tupleIffNS6_9null_typeES8_S8_S8_S8_S8_S8_S8_EEjEEZNS1_14transform_implILb0ES3_SA_NS6_6detail15normal_iteratorINS6_10device_ptrIS9_EEEENSD_INSE_IjEEEEZNS1_13binary_searchIS3_SA_SG_SG_SI_NS1_21lower_bound_search_opENSC_16wrapped_functionINS0_4lessIvEEbEEEE10hipError_tPvRmT1_T2_T3_mmT4_T5_P12ihipStream_tbEUlRKS9_E_EESP_ST_SU_mSV_SY_bEUlT_E_NS1_11comp_targetILNS1_3genE5ELNS1_11target_archE942ELNS1_3gpuE9ELNS1_3repE0EEENS1_30default_config_static_selectorELNS0_4arch9wavefront6targetE1EEEvSS_,comdat
.Lfunc_end140:
	.size	_ZN7rocprim17ROCPRIM_400000_NS6detail17trampoline_kernelINS0_14default_configENS1_27lower_bound_config_selectorIN6thrust23THRUST_200600_302600_NS5tupleIffNS6_9null_typeES8_S8_S8_S8_S8_S8_S8_EEjEEZNS1_14transform_implILb0ES3_SA_NS6_6detail15normal_iteratorINS6_10device_ptrIS9_EEEENSD_INSE_IjEEEEZNS1_13binary_searchIS3_SA_SG_SG_SI_NS1_21lower_bound_search_opENSC_16wrapped_functionINS0_4lessIvEEbEEEE10hipError_tPvRmT1_T2_T3_mmT4_T5_P12ihipStream_tbEUlRKS9_E_EESP_ST_SU_mSV_SY_bEUlT_E_NS1_11comp_targetILNS1_3genE5ELNS1_11target_archE942ELNS1_3gpuE9ELNS1_3repE0EEENS1_30default_config_static_selectorELNS0_4arch9wavefront6targetE1EEEvSS_, .Lfunc_end140-_ZN7rocprim17ROCPRIM_400000_NS6detail17trampoline_kernelINS0_14default_configENS1_27lower_bound_config_selectorIN6thrust23THRUST_200600_302600_NS5tupleIffNS6_9null_typeES8_S8_S8_S8_S8_S8_S8_EEjEEZNS1_14transform_implILb0ES3_SA_NS6_6detail15normal_iteratorINS6_10device_ptrIS9_EEEENSD_INSE_IjEEEEZNS1_13binary_searchIS3_SA_SG_SG_SI_NS1_21lower_bound_search_opENSC_16wrapped_functionINS0_4lessIvEEbEEEE10hipError_tPvRmT1_T2_T3_mmT4_T5_P12ihipStream_tbEUlRKS9_E_EESP_ST_SU_mSV_SY_bEUlT_E_NS1_11comp_targetILNS1_3genE5ELNS1_11target_archE942ELNS1_3gpuE9ELNS1_3repE0EEENS1_30default_config_static_selectorELNS0_4arch9wavefront6targetE1EEEvSS_
                                        ; -- End function
	.section	.AMDGPU.csdata,"",@progbits
; Kernel info:
; codeLenInByte = 780
; NumSgprs: 28
; NumVgprs: 12
; NumAgprs: 0
; TotalNumVgprs: 12
; ScratchSize: 0
; MemoryBound: 0
; FloatMode: 240
; IeeeMode: 1
; LDSByteSize: 0 bytes/workgroup (compile time only)
; SGPRBlocks: 3
; VGPRBlocks: 1
; NumSGPRsForWavesPerEU: 28
; NumVGPRsForWavesPerEU: 12
; AccumOffset: 12
; Occupancy: 8
; WaveLimiterHint : 0
; COMPUTE_PGM_RSRC2:SCRATCH_EN: 0
; COMPUTE_PGM_RSRC2:USER_SGPR: 2
; COMPUTE_PGM_RSRC2:TRAP_HANDLER: 0
; COMPUTE_PGM_RSRC2:TGID_X_EN: 1
; COMPUTE_PGM_RSRC2:TGID_Y_EN: 0
; COMPUTE_PGM_RSRC2:TGID_Z_EN: 0
; COMPUTE_PGM_RSRC2:TIDIG_COMP_CNT: 0
; COMPUTE_PGM_RSRC3_GFX90A:ACCUM_OFFSET: 2
; COMPUTE_PGM_RSRC3_GFX90A:TG_SPLIT: 0
	.section	.text._ZN7rocprim17ROCPRIM_400000_NS6detail17trampoline_kernelINS0_14default_configENS1_27lower_bound_config_selectorIN6thrust23THRUST_200600_302600_NS5tupleIffNS6_9null_typeES8_S8_S8_S8_S8_S8_S8_EEjEEZNS1_14transform_implILb0ES3_SA_NS6_6detail15normal_iteratorINS6_10device_ptrIS9_EEEENSD_INSE_IjEEEEZNS1_13binary_searchIS3_SA_SG_SG_SI_NS1_21lower_bound_search_opENSC_16wrapped_functionINS0_4lessIvEEbEEEE10hipError_tPvRmT1_T2_T3_mmT4_T5_P12ihipStream_tbEUlRKS9_E_EESP_ST_SU_mSV_SY_bEUlT_E_NS1_11comp_targetILNS1_3genE4ELNS1_11target_archE910ELNS1_3gpuE8ELNS1_3repE0EEENS1_30default_config_static_selectorELNS0_4arch9wavefront6targetE1EEEvSS_,"axG",@progbits,_ZN7rocprim17ROCPRIM_400000_NS6detail17trampoline_kernelINS0_14default_configENS1_27lower_bound_config_selectorIN6thrust23THRUST_200600_302600_NS5tupleIffNS6_9null_typeES8_S8_S8_S8_S8_S8_S8_EEjEEZNS1_14transform_implILb0ES3_SA_NS6_6detail15normal_iteratorINS6_10device_ptrIS9_EEEENSD_INSE_IjEEEEZNS1_13binary_searchIS3_SA_SG_SG_SI_NS1_21lower_bound_search_opENSC_16wrapped_functionINS0_4lessIvEEbEEEE10hipError_tPvRmT1_T2_T3_mmT4_T5_P12ihipStream_tbEUlRKS9_E_EESP_ST_SU_mSV_SY_bEUlT_E_NS1_11comp_targetILNS1_3genE4ELNS1_11target_archE910ELNS1_3gpuE8ELNS1_3repE0EEENS1_30default_config_static_selectorELNS0_4arch9wavefront6targetE1EEEvSS_,comdat
	.protected	_ZN7rocprim17ROCPRIM_400000_NS6detail17trampoline_kernelINS0_14default_configENS1_27lower_bound_config_selectorIN6thrust23THRUST_200600_302600_NS5tupleIffNS6_9null_typeES8_S8_S8_S8_S8_S8_S8_EEjEEZNS1_14transform_implILb0ES3_SA_NS6_6detail15normal_iteratorINS6_10device_ptrIS9_EEEENSD_INSE_IjEEEEZNS1_13binary_searchIS3_SA_SG_SG_SI_NS1_21lower_bound_search_opENSC_16wrapped_functionINS0_4lessIvEEbEEEE10hipError_tPvRmT1_T2_T3_mmT4_T5_P12ihipStream_tbEUlRKS9_E_EESP_ST_SU_mSV_SY_bEUlT_E_NS1_11comp_targetILNS1_3genE4ELNS1_11target_archE910ELNS1_3gpuE8ELNS1_3repE0EEENS1_30default_config_static_selectorELNS0_4arch9wavefront6targetE1EEEvSS_ ; -- Begin function _ZN7rocprim17ROCPRIM_400000_NS6detail17trampoline_kernelINS0_14default_configENS1_27lower_bound_config_selectorIN6thrust23THRUST_200600_302600_NS5tupleIffNS6_9null_typeES8_S8_S8_S8_S8_S8_S8_EEjEEZNS1_14transform_implILb0ES3_SA_NS6_6detail15normal_iteratorINS6_10device_ptrIS9_EEEENSD_INSE_IjEEEEZNS1_13binary_searchIS3_SA_SG_SG_SI_NS1_21lower_bound_search_opENSC_16wrapped_functionINS0_4lessIvEEbEEEE10hipError_tPvRmT1_T2_T3_mmT4_T5_P12ihipStream_tbEUlRKS9_E_EESP_ST_SU_mSV_SY_bEUlT_E_NS1_11comp_targetILNS1_3genE4ELNS1_11target_archE910ELNS1_3gpuE8ELNS1_3repE0EEENS1_30default_config_static_selectorELNS0_4arch9wavefront6targetE1EEEvSS_
	.globl	_ZN7rocprim17ROCPRIM_400000_NS6detail17trampoline_kernelINS0_14default_configENS1_27lower_bound_config_selectorIN6thrust23THRUST_200600_302600_NS5tupleIffNS6_9null_typeES8_S8_S8_S8_S8_S8_S8_EEjEEZNS1_14transform_implILb0ES3_SA_NS6_6detail15normal_iteratorINS6_10device_ptrIS9_EEEENSD_INSE_IjEEEEZNS1_13binary_searchIS3_SA_SG_SG_SI_NS1_21lower_bound_search_opENSC_16wrapped_functionINS0_4lessIvEEbEEEE10hipError_tPvRmT1_T2_T3_mmT4_T5_P12ihipStream_tbEUlRKS9_E_EESP_ST_SU_mSV_SY_bEUlT_E_NS1_11comp_targetILNS1_3genE4ELNS1_11target_archE910ELNS1_3gpuE8ELNS1_3repE0EEENS1_30default_config_static_selectorELNS0_4arch9wavefront6targetE1EEEvSS_
	.p2align	8
	.type	_ZN7rocprim17ROCPRIM_400000_NS6detail17trampoline_kernelINS0_14default_configENS1_27lower_bound_config_selectorIN6thrust23THRUST_200600_302600_NS5tupleIffNS6_9null_typeES8_S8_S8_S8_S8_S8_S8_EEjEEZNS1_14transform_implILb0ES3_SA_NS6_6detail15normal_iteratorINS6_10device_ptrIS9_EEEENSD_INSE_IjEEEEZNS1_13binary_searchIS3_SA_SG_SG_SI_NS1_21lower_bound_search_opENSC_16wrapped_functionINS0_4lessIvEEbEEEE10hipError_tPvRmT1_T2_T3_mmT4_T5_P12ihipStream_tbEUlRKS9_E_EESP_ST_SU_mSV_SY_bEUlT_E_NS1_11comp_targetILNS1_3genE4ELNS1_11target_archE910ELNS1_3gpuE8ELNS1_3repE0EEENS1_30default_config_static_selectorELNS0_4arch9wavefront6targetE1EEEvSS_,@function
_ZN7rocprim17ROCPRIM_400000_NS6detail17trampoline_kernelINS0_14default_configENS1_27lower_bound_config_selectorIN6thrust23THRUST_200600_302600_NS5tupleIffNS6_9null_typeES8_S8_S8_S8_S8_S8_S8_EEjEEZNS1_14transform_implILb0ES3_SA_NS6_6detail15normal_iteratorINS6_10device_ptrIS9_EEEENSD_INSE_IjEEEEZNS1_13binary_searchIS3_SA_SG_SG_SI_NS1_21lower_bound_search_opENSC_16wrapped_functionINS0_4lessIvEEbEEEE10hipError_tPvRmT1_T2_T3_mmT4_T5_P12ihipStream_tbEUlRKS9_E_EESP_ST_SU_mSV_SY_bEUlT_E_NS1_11comp_targetILNS1_3genE4ELNS1_11target_archE910ELNS1_3gpuE8ELNS1_3repE0EEENS1_30default_config_static_selectorELNS0_4arch9wavefront6targetE1EEEvSS_: ; @_ZN7rocprim17ROCPRIM_400000_NS6detail17trampoline_kernelINS0_14default_configENS1_27lower_bound_config_selectorIN6thrust23THRUST_200600_302600_NS5tupleIffNS6_9null_typeES8_S8_S8_S8_S8_S8_S8_EEjEEZNS1_14transform_implILb0ES3_SA_NS6_6detail15normal_iteratorINS6_10device_ptrIS9_EEEENSD_INSE_IjEEEEZNS1_13binary_searchIS3_SA_SG_SG_SI_NS1_21lower_bound_search_opENSC_16wrapped_functionINS0_4lessIvEEbEEEE10hipError_tPvRmT1_T2_T3_mmT4_T5_P12ihipStream_tbEUlRKS9_E_EESP_ST_SU_mSV_SY_bEUlT_E_NS1_11comp_targetILNS1_3genE4ELNS1_11target_archE910ELNS1_3gpuE8ELNS1_3repE0EEENS1_30default_config_static_selectorELNS0_4arch9wavefront6targetE1EEEvSS_
; %bb.0:
	.section	.rodata,"a",@progbits
	.p2align	6, 0x0
	.amdhsa_kernel _ZN7rocprim17ROCPRIM_400000_NS6detail17trampoline_kernelINS0_14default_configENS1_27lower_bound_config_selectorIN6thrust23THRUST_200600_302600_NS5tupleIffNS6_9null_typeES8_S8_S8_S8_S8_S8_S8_EEjEEZNS1_14transform_implILb0ES3_SA_NS6_6detail15normal_iteratorINS6_10device_ptrIS9_EEEENSD_INSE_IjEEEEZNS1_13binary_searchIS3_SA_SG_SG_SI_NS1_21lower_bound_search_opENSC_16wrapped_functionINS0_4lessIvEEbEEEE10hipError_tPvRmT1_T2_T3_mmT4_T5_P12ihipStream_tbEUlRKS9_E_EESP_ST_SU_mSV_SY_bEUlT_E_NS1_11comp_targetILNS1_3genE4ELNS1_11target_archE910ELNS1_3gpuE8ELNS1_3repE0EEENS1_30default_config_static_selectorELNS0_4arch9wavefront6targetE1EEEvSS_
		.amdhsa_group_segment_fixed_size 0
		.amdhsa_private_segment_fixed_size 0
		.amdhsa_kernarg_size 56
		.amdhsa_user_sgpr_count 2
		.amdhsa_user_sgpr_dispatch_ptr 0
		.amdhsa_user_sgpr_queue_ptr 0
		.amdhsa_user_sgpr_kernarg_segment_ptr 1
		.amdhsa_user_sgpr_dispatch_id 0
		.amdhsa_user_sgpr_kernarg_preload_length 0
		.amdhsa_user_sgpr_kernarg_preload_offset 0
		.amdhsa_user_sgpr_private_segment_size 0
		.amdhsa_uses_dynamic_stack 0
		.amdhsa_enable_private_segment 0
		.amdhsa_system_sgpr_workgroup_id_x 1
		.amdhsa_system_sgpr_workgroup_id_y 0
		.amdhsa_system_sgpr_workgroup_id_z 0
		.amdhsa_system_sgpr_workgroup_info 0
		.amdhsa_system_vgpr_workitem_id 0
		.amdhsa_next_free_vgpr 1
		.amdhsa_next_free_sgpr 0
		.amdhsa_accum_offset 4
		.amdhsa_reserve_vcc 0
		.amdhsa_float_round_mode_32 0
		.amdhsa_float_round_mode_16_64 0
		.amdhsa_float_denorm_mode_32 3
		.amdhsa_float_denorm_mode_16_64 3
		.amdhsa_dx10_clamp 1
		.amdhsa_ieee_mode 1
		.amdhsa_fp16_overflow 0
		.amdhsa_tg_split 0
		.amdhsa_exception_fp_ieee_invalid_op 0
		.amdhsa_exception_fp_denorm_src 0
		.amdhsa_exception_fp_ieee_div_zero 0
		.amdhsa_exception_fp_ieee_overflow 0
		.amdhsa_exception_fp_ieee_underflow 0
		.amdhsa_exception_fp_ieee_inexact 0
		.amdhsa_exception_int_div_zero 0
	.end_amdhsa_kernel
	.section	.text._ZN7rocprim17ROCPRIM_400000_NS6detail17trampoline_kernelINS0_14default_configENS1_27lower_bound_config_selectorIN6thrust23THRUST_200600_302600_NS5tupleIffNS6_9null_typeES8_S8_S8_S8_S8_S8_S8_EEjEEZNS1_14transform_implILb0ES3_SA_NS6_6detail15normal_iteratorINS6_10device_ptrIS9_EEEENSD_INSE_IjEEEEZNS1_13binary_searchIS3_SA_SG_SG_SI_NS1_21lower_bound_search_opENSC_16wrapped_functionINS0_4lessIvEEbEEEE10hipError_tPvRmT1_T2_T3_mmT4_T5_P12ihipStream_tbEUlRKS9_E_EESP_ST_SU_mSV_SY_bEUlT_E_NS1_11comp_targetILNS1_3genE4ELNS1_11target_archE910ELNS1_3gpuE8ELNS1_3repE0EEENS1_30default_config_static_selectorELNS0_4arch9wavefront6targetE1EEEvSS_,"axG",@progbits,_ZN7rocprim17ROCPRIM_400000_NS6detail17trampoline_kernelINS0_14default_configENS1_27lower_bound_config_selectorIN6thrust23THRUST_200600_302600_NS5tupleIffNS6_9null_typeES8_S8_S8_S8_S8_S8_S8_EEjEEZNS1_14transform_implILb0ES3_SA_NS6_6detail15normal_iteratorINS6_10device_ptrIS9_EEEENSD_INSE_IjEEEEZNS1_13binary_searchIS3_SA_SG_SG_SI_NS1_21lower_bound_search_opENSC_16wrapped_functionINS0_4lessIvEEbEEEE10hipError_tPvRmT1_T2_T3_mmT4_T5_P12ihipStream_tbEUlRKS9_E_EESP_ST_SU_mSV_SY_bEUlT_E_NS1_11comp_targetILNS1_3genE4ELNS1_11target_archE910ELNS1_3gpuE8ELNS1_3repE0EEENS1_30default_config_static_selectorELNS0_4arch9wavefront6targetE1EEEvSS_,comdat
.Lfunc_end141:
	.size	_ZN7rocprim17ROCPRIM_400000_NS6detail17trampoline_kernelINS0_14default_configENS1_27lower_bound_config_selectorIN6thrust23THRUST_200600_302600_NS5tupleIffNS6_9null_typeES8_S8_S8_S8_S8_S8_S8_EEjEEZNS1_14transform_implILb0ES3_SA_NS6_6detail15normal_iteratorINS6_10device_ptrIS9_EEEENSD_INSE_IjEEEEZNS1_13binary_searchIS3_SA_SG_SG_SI_NS1_21lower_bound_search_opENSC_16wrapped_functionINS0_4lessIvEEbEEEE10hipError_tPvRmT1_T2_T3_mmT4_T5_P12ihipStream_tbEUlRKS9_E_EESP_ST_SU_mSV_SY_bEUlT_E_NS1_11comp_targetILNS1_3genE4ELNS1_11target_archE910ELNS1_3gpuE8ELNS1_3repE0EEENS1_30default_config_static_selectorELNS0_4arch9wavefront6targetE1EEEvSS_, .Lfunc_end141-_ZN7rocprim17ROCPRIM_400000_NS6detail17trampoline_kernelINS0_14default_configENS1_27lower_bound_config_selectorIN6thrust23THRUST_200600_302600_NS5tupleIffNS6_9null_typeES8_S8_S8_S8_S8_S8_S8_EEjEEZNS1_14transform_implILb0ES3_SA_NS6_6detail15normal_iteratorINS6_10device_ptrIS9_EEEENSD_INSE_IjEEEEZNS1_13binary_searchIS3_SA_SG_SG_SI_NS1_21lower_bound_search_opENSC_16wrapped_functionINS0_4lessIvEEbEEEE10hipError_tPvRmT1_T2_T3_mmT4_T5_P12ihipStream_tbEUlRKS9_E_EESP_ST_SU_mSV_SY_bEUlT_E_NS1_11comp_targetILNS1_3genE4ELNS1_11target_archE910ELNS1_3gpuE8ELNS1_3repE0EEENS1_30default_config_static_selectorELNS0_4arch9wavefront6targetE1EEEvSS_
                                        ; -- End function
	.section	.AMDGPU.csdata,"",@progbits
; Kernel info:
; codeLenInByte = 0
; NumSgprs: 6
; NumVgprs: 0
; NumAgprs: 0
; TotalNumVgprs: 0
; ScratchSize: 0
; MemoryBound: 0
; FloatMode: 240
; IeeeMode: 1
; LDSByteSize: 0 bytes/workgroup (compile time only)
; SGPRBlocks: 0
; VGPRBlocks: 0
; NumSGPRsForWavesPerEU: 6
; NumVGPRsForWavesPerEU: 1
; AccumOffset: 4
; Occupancy: 8
; WaveLimiterHint : 0
; COMPUTE_PGM_RSRC2:SCRATCH_EN: 0
; COMPUTE_PGM_RSRC2:USER_SGPR: 2
; COMPUTE_PGM_RSRC2:TRAP_HANDLER: 0
; COMPUTE_PGM_RSRC2:TGID_X_EN: 1
; COMPUTE_PGM_RSRC2:TGID_Y_EN: 0
; COMPUTE_PGM_RSRC2:TGID_Z_EN: 0
; COMPUTE_PGM_RSRC2:TIDIG_COMP_CNT: 0
; COMPUTE_PGM_RSRC3_GFX90A:ACCUM_OFFSET: 0
; COMPUTE_PGM_RSRC3_GFX90A:TG_SPLIT: 0
	.section	.text._ZN7rocprim17ROCPRIM_400000_NS6detail17trampoline_kernelINS0_14default_configENS1_27lower_bound_config_selectorIN6thrust23THRUST_200600_302600_NS5tupleIffNS6_9null_typeES8_S8_S8_S8_S8_S8_S8_EEjEEZNS1_14transform_implILb0ES3_SA_NS6_6detail15normal_iteratorINS6_10device_ptrIS9_EEEENSD_INSE_IjEEEEZNS1_13binary_searchIS3_SA_SG_SG_SI_NS1_21lower_bound_search_opENSC_16wrapped_functionINS0_4lessIvEEbEEEE10hipError_tPvRmT1_T2_T3_mmT4_T5_P12ihipStream_tbEUlRKS9_E_EESP_ST_SU_mSV_SY_bEUlT_E_NS1_11comp_targetILNS1_3genE3ELNS1_11target_archE908ELNS1_3gpuE7ELNS1_3repE0EEENS1_30default_config_static_selectorELNS0_4arch9wavefront6targetE1EEEvSS_,"axG",@progbits,_ZN7rocprim17ROCPRIM_400000_NS6detail17trampoline_kernelINS0_14default_configENS1_27lower_bound_config_selectorIN6thrust23THRUST_200600_302600_NS5tupleIffNS6_9null_typeES8_S8_S8_S8_S8_S8_S8_EEjEEZNS1_14transform_implILb0ES3_SA_NS6_6detail15normal_iteratorINS6_10device_ptrIS9_EEEENSD_INSE_IjEEEEZNS1_13binary_searchIS3_SA_SG_SG_SI_NS1_21lower_bound_search_opENSC_16wrapped_functionINS0_4lessIvEEbEEEE10hipError_tPvRmT1_T2_T3_mmT4_T5_P12ihipStream_tbEUlRKS9_E_EESP_ST_SU_mSV_SY_bEUlT_E_NS1_11comp_targetILNS1_3genE3ELNS1_11target_archE908ELNS1_3gpuE7ELNS1_3repE0EEENS1_30default_config_static_selectorELNS0_4arch9wavefront6targetE1EEEvSS_,comdat
	.protected	_ZN7rocprim17ROCPRIM_400000_NS6detail17trampoline_kernelINS0_14default_configENS1_27lower_bound_config_selectorIN6thrust23THRUST_200600_302600_NS5tupleIffNS6_9null_typeES8_S8_S8_S8_S8_S8_S8_EEjEEZNS1_14transform_implILb0ES3_SA_NS6_6detail15normal_iteratorINS6_10device_ptrIS9_EEEENSD_INSE_IjEEEEZNS1_13binary_searchIS3_SA_SG_SG_SI_NS1_21lower_bound_search_opENSC_16wrapped_functionINS0_4lessIvEEbEEEE10hipError_tPvRmT1_T2_T3_mmT4_T5_P12ihipStream_tbEUlRKS9_E_EESP_ST_SU_mSV_SY_bEUlT_E_NS1_11comp_targetILNS1_3genE3ELNS1_11target_archE908ELNS1_3gpuE7ELNS1_3repE0EEENS1_30default_config_static_selectorELNS0_4arch9wavefront6targetE1EEEvSS_ ; -- Begin function _ZN7rocprim17ROCPRIM_400000_NS6detail17trampoline_kernelINS0_14default_configENS1_27lower_bound_config_selectorIN6thrust23THRUST_200600_302600_NS5tupleIffNS6_9null_typeES8_S8_S8_S8_S8_S8_S8_EEjEEZNS1_14transform_implILb0ES3_SA_NS6_6detail15normal_iteratorINS6_10device_ptrIS9_EEEENSD_INSE_IjEEEEZNS1_13binary_searchIS3_SA_SG_SG_SI_NS1_21lower_bound_search_opENSC_16wrapped_functionINS0_4lessIvEEbEEEE10hipError_tPvRmT1_T2_T3_mmT4_T5_P12ihipStream_tbEUlRKS9_E_EESP_ST_SU_mSV_SY_bEUlT_E_NS1_11comp_targetILNS1_3genE3ELNS1_11target_archE908ELNS1_3gpuE7ELNS1_3repE0EEENS1_30default_config_static_selectorELNS0_4arch9wavefront6targetE1EEEvSS_
	.globl	_ZN7rocprim17ROCPRIM_400000_NS6detail17trampoline_kernelINS0_14default_configENS1_27lower_bound_config_selectorIN6thrust23THRUST_200600_302600_NS5tupleIffNS6_9null_typeES8_S8_S8_S8_S8_S8_S8_EEjEEZNS1_14transform_implILb0ES3_SA_NS6_6detail15normal_iteratorINS6_10device_ptrIS9_EEEENSD_INSE_IjEEEEZNS1_13binary_searchIS3_SA_SG_SG_SI_NS1_21lower_bound_search_opENSC_16wrapped_functionINS0_4lessIvEEbEEEE10hipError_tPvRmT1_T2_T3_mmT4_T5_P12ihipStream_tbEUlRKS9_E_EESP_ST_SU_mSV_SY_bEUlT_E_NS1_11comp_targetILNS1_3genE3ELNS1_11target_archE908ELNS1_3gpuE7ELNS1_3repE0EEENS1_30default_config_static_selectorELNS0_4arch9wavefront6targetE1EEEvSS_
	.p2align	8
	.type	_ZN7rocprim17ROCPRIM_400000_NS6detail17trampoline_kernelINS0_14default_configENS1_27lower_bound_config_selectorIN6thrust23THRUST_200600_302600_NS5tupleIffNS6_9null_typeES8_S8_S8_S8_S8_S8_S8_EEjEEZNS1_14transform_implILb0ES3_SA_NS6_6detail15normal_iteratorINS6_10device_ptrIS9_EEEENSD_INSE_IjEEEEZNS1_13binary_searchIS3_SA_SG_SG_SI_NS1_21lower_bound_search_opENSC_16wrapped_functionINS0_4lessIvEEbEEEE10hipError_tPvRmT1_T2_T3_mmT4_T5_P12ihipStream_tbEUlRKS9_E_EESP_ST_SU_mSV_SY_bEUlT_E_NS1_11comp_targetILNS1_3genE3ELNS1_11target_archE908ELNS1_3gpuE7ELNS1_3repE0EEENS1_30default_config_static_selectorELNS0_4arch9wavefront6targetE1EEEvSS_,@function
_ZN7rocprim17ROCPRIM_400000_NS6detail17trampoline_kernelINS0_14default_configENS1_27lower_bound_config_selectorIN6thrust23THRUST_200600_302600_NS5tupleIffNS6_9null_typeES8_S8_S8_S8_S8_S8_S8_EEjEEZNS1_14transform_implILb0ES3_SA_NS6_6detail15normal_iteratorINS6_10device_ptrIS9_EEEENSD_INSE_IjEEEEZNS1_13binary_searchIS3_SA_SG_SG_SI_NS1_21lower_bound_search_opENSC_16wrapped_functionINS0_4lessIvEEbEEEE10hipError_tPvRmT1_T2_T3_mmT4_T5_P12ihipStream_tbEUlRKS9_E_EESP_ST_SU_mSV_SY_bEUlT_E_NS1_11comp_targetILNS1_3genE3ELNS1_11target_archE908ELNS1_3gpuE7ELNS1_3repE0EEENS1_30default_config_static_selectorELNS0_4arch9wavefront6targetE1EEEvSS_: ; @_ZN7rocprim17ROCPRIM_400000_NS6detail17trampoline_kernelINS0_14default_configENS1_27lower_bound_config_selectorIN6thrust23THRUST_200600_302600_NS5tupleIffNS6_9null_typeES8_S8_S8_S8_S8_S8_S8_EEjEEZNS1_14transform_implILb0ES3_SA_NS6_6detail15normal_iteratorINS6_10device_ptrIS9_EEEENSD_INSE_IjEEEEZNS1_13binary_searchIS3_SA_SG_SG_SI_NS1_21lower_bound_search_opENSC_16wrapped_functionINS0_4lessIvEEbEEEE10hipError_tPvRmT1_T2_T3_mmT4_T5_P12ihipStream_tbEUlRKS9_E_EESP_ST_SU_mSV_SY_bEUlT_E_NS1_11comp_targetILNS1_3genE3ELNS1_11target_archE908ELNS1_3gpuE7ELNS1_3repE0EEENS1_30default_config_static_selectorELNS0_4arch9wavefront6targetE1EEEvSS_
; %bb.0:
	.section	.rodata,"a",@progbits
	.p2align	6, 0x0
	.amdhsa_kernel _ZN7rocprim17ROCPRIM_400000_NS6detail17trampoline_kernelINS0_14default_configENS1_27lower_bound_config_selectorIN6thrust23THRUST_200600_302600_NS5tupleIffNS6_9null_typeES8_S8_S8_S8_S8_S8_S8_EEjEEZNS1_14transform_implILb0ES3_SA_NS6_6detail15normal_iteratorINS6_10device_ptrIS9_EEEENSD_INSE_IjEEEEZNS1_13binary_searchIS3_SA_SG_SG_SI_NS1_21lower_bound_search_opENSC_16wrapped_functionINS0_4lessIvEEbEEEE10hipError_tPvRmT1_T2_T3_mmT4_T5_P12ihipStream_tbEUlRKS9_E_EESP_ST_SU_mSV_SY_bEUlT_E_NS1_11comp_targetILNS1_3genE3ELNS1_11target_archE908ELNS1_3gpuE7ELNS1_3repE0EEENS1_30default_config_static_selectorELNS0_4arch9wavefront6targetE1EEEvSS_
		.amdhsa_group_segment_fixed_size 0
		.amdhsa_private_segment_fixed_size 0
		.amdhsa_kernarg_size 56
		.amdhsa_user_sgpr_count 2
		.amdhsa_user_sgpr_dispatch_ptr 0
		.amdhsa_user_sgpr_queue_ptr 0
		.amdhsa_user_sgpr_kernarg_segment_ptr 1
		.amdhsa_user_sgpr_dispatch_id 0
		.amdhsa_user_sgpr_kernarg_preload_length 0
		.amdhsa_user_sgpr_kernarg_preload_offset 0
		.amdhsa_user_sgpr_private_segment_size 0
		.amdhsa_uses_dynamic_stack 0
		.amdhsa_enable_private_segment 0
		.amdhsa_system_sgpr_workgroup_id_x 1
		.amdhsa_system_sgpr_workgroup_id_y 0
		.amdhsa_system_sgpr_workgroup_id_z 0
		.amdhsa_system_sgpr_workgroup_info 0
		.amdhsa_system_vgpr_workitem_id 0
		.amdhsa_next_free_vgpr 1
		.amdhsa_next_free_sgpr 0
		.amdhsa_accum_offset 4
		.amdhsa_reserve_vcc 0
		.amdhsa_float_round_mode_32 0
		.amdhsa_float_round_mode_16_64 0
		.amdhsa_float_denorm_mode_32 3
		.amdhsa_float_denorm_mode_16_64 3
		.amdhsa_dx10_clamp 1
		.amdhsa_ieee_mode 1
		.amdhsa_fp16_overflow 0
		.amdhsa_tg_split 0
		.amdhsa_exception_fp_ieee_invalid_op 0
		.amdhsa_exception_fp_denorm_src 0
		.amdhsa_exception_fp_ieee_div_zero 0
		.amdhsa_exception_fp_ieee_overflow 0
		.amdhsa_exception_fp_ieee_underflow 0
		.amdhsa_exception_fp_ieee_inexact 0
		.amdhsa_exception_int_div_zero 0
	.end_amdhsa_kernel
	.section	.text._ZN7rocprim17ROCPRIM_400000_NS6detail17trampoline_kernelINS0_14default_configENS1_27lower_bound_config_selectorIN6thrust23THRUST_200600_302600_NS5tupleIffNS6_9null_typeES8_S8_S8_S8_S8_S8_S8_EEjEEZNS1_14transform_implILb0ES3_SA_NS6_6detail15normal_iteratorINS6_10device_ptrIS9_EEEENSD_INSE_IjEEEEZNS1_13binary_searchIS3_SA_SG_SG_SI_NS1_21lower_bound_search_opENSC_16wrapped_functionINS0_4lessIvEEbEEEE10hipError_tPvRmT1_T2_T3_mmT4_T5_P12ihipStream_tbEUlRKS9_E_EESP_ST_SU_mSV_SY_bEUlT_E_NS1_11comp_targetILNS1_3genE3ELNS1_11target_archE908ELNS1_3gpuE7ELNS1_3repE0EEENS1_30default_config_static_selectorELNS0_4arch9wavefront6targetE1EEEvSS_,"axG",@progbits,_ZN7rocprim17ROCPRIM_400000_NS6detail17trampoline_kernelINS0_14default_configENS1_27lower_bound_config_selectorIN6thrust23THRUST_200600_302600_NS5tupleIffNS6_9null_typeES8_S8_S8_S8_S8_S8_S8_EEjEEZNS1_14transform_implILb0ES3_SA_NS6_6detail15normal_iteratorINS6_10device_ptrIS9_EEEENSD_INSE_IjEEEEZNS1_13binary_searchIS3_SA_SG_SG_SI_NS1_21lower_bound_search_opENSC_16wrapped_functionINS0_4lessIvEEbEEEE10hipError_tPvRmT1_T2_T3_mmT4_T5_P12ihipStream_tbEUlRKS9_E_EESP_ST_SU_mSV_SY_bEUlT_E_NS1_11comp_targetILNS1_3genE3ELNS1_11target_archE908ELNS1_3gpuE7ELNS1_3repE0EEENS1_30default_config_static_selectorELNS0_4arch9wavefront6targetE1EEEvSS_,comdat
.Lfunc_end142:
	.size	_ZN7rocprim17ROCPRIM_400000_NS6detail17trampoline_kernelINS0_14default_configENS1_27lower_bound_config_selectorIN6thrust23THRUST_200600_302600_NS5tupleIffNS6_9null_typeES8_S8_S8_S8_S8_S8_S8_EEjEEZNS1_14transform_implILb0ES3_SA_NS6_6detail15normal_iteratorINS6_10device_ptrIS9_EEEENSD_INSE_IjEEEEZNS1_13binary_searchIS3_SA_SG_SG_SI_NS1_21lower_bound_search_opENSC_16wrapped_functionINS0_4lessIvEEbEEEE10hipError_tPvRmT1_T2_T3_mmT4_T5_P12ihipStream_tbEUlRKS9_E_EESP_ST_SU_mSV_SY_bEUlT_E_NS1_11comp_targetILNS1_3genE3ELNS1_11target_archE908ELNS1_3gpuE7ELNS1_3repE0EEENS1_30default_config_static_selectorELNS0_4arch9wavefront6targetE1EEEvSS_, .Lfunc_end142-_ZN7rocprim17ROCPRIM_400000_NS6detail17trampoline_kernelINS0_14default_configENS1_27lower_bound_config_selectorIN6thrust23THRUST_200600_302600_NS5tupleIffNS6_9null_typeES8_S8_S8_S8_S8_S8_S8_EEjEEZNS1_14transform_implILb0ES3_SA_NS6_6detail15normal_iteratorINS6_10device_ptrIS9_EEEENSD_INSE_IjEEEEZNS1_13binary_searchIS3_SA_SG_SG_SI_NS1_21lower_bound_search_opENSC_16wrapped_functionINS0_4lessIvEEbEEEE10hipError_tPvRmT1_T2_T3_mmT4_T5_P12ihipStream_tbEUlRKS9_E_EESP_ST_SU_mSV_SY_bEUlT_E_NS1_11comp_targetILNS1_3genE3ELNS1_11target_archE908ELNS1_3gpuE7ELNS1_3repE0EEENS1_30default_config_static_selectorELNS0_4arch9wavefront6targetE1EEEvSS_
                                        ; -- End function
	.section	.AMDGPU.csdata,"",@progbits
; Kernel info:
; codeLenInByte = 0
; NumSgprs: 6
; NumVgprs: 0
; NumAgprs: 0
; TotalNumVgprs: 0
; ScratchSize: 0
; MemoryBound: 0
; FloatMode: 240
; IeeeMode: 1
; LDSByteSize: 0 bytes/workgroup (compile time only)
; SGPRBlocks: 0
; VGPRBlocks: 0
; NumSGPRsForWavesPerEU: 6
; NumVGPRsForWavesPerEU: 1
; AccumOffset: 4
; Occupancy: 8
; WaveLimiterHint : 0
; COMPUTE_PGM_RSRC2:SCRATCH_EN: 0
; COMPUTE_PGM_RSRC2:USER_SGPR: 2
; COMPUTE_PGM_RSRC2:TRAP_HANDLER: 0
; COMPUTE_PGM_RSRC2:TGID_X_EN: 1
; COMPUTE_PGM_RSRC2:TGID_Y_EN: 0
; COMPUTE_PGM_RSRC2:TGID_Z_EN: 0
; COMPUTE_PGM_RSRC2:TIDIG_COMP_CNT: 0
; COMPUTE_PGM_RSRC3_GFX90A:ACCUM_OFFSET: 0
; COMPUTE_PGM_RSRC3_GFX90A:TG_SPLIT: 0
	.section	.text._ZN7rocprim17ROCPRIM_400000_NS6detail17trampoline_kernelINS0_14default_configENS1_27lower_bound_config_selectorIN6thrust23THRUST_200600_302600_NS5tupleIffNS6_9null_typeES8_S8_S8_S8_S8_S8_S8_EEjEEZNS1_14transform_implILb0ES3_SA_NS6_6detail15normal_iteratorINS6_10device_ptrIS9_EEEENSD_INSE_IjEEEEZNS1_13binary_searchIS3_SA_SG_SG_SI_NS1_21lower_bound_search_opENSC_16wrapped_functionINS0_4lessIvEEbEEEE10hipError_tPvRmT1_T2_T3_mmT4_T5_P12ihipStream_tbEUlRKS9_E_EESP_ST_SU_mSV_SY_bEUlT_E_NS1_11comp_targetILNS1_3genE2ELNS1_11target_archE906ELNS1_3gpuE6ELNS1_3repE0EEENS1_30default_config_static_selectorELNS0_4arch9wavefront6targetE1EEEvSS_,"axG",@progbits,_ZN7rocprim17ROCPRIM_400000_NS6detail17trampoline_kernelINS0_14default_configENS1_27lower_bound_config_selectorIN6thrust23THRUST_200600_302600_NS5tupleIffNS6_9null_typeES8_S8_S8_S8_S8_S8_S8_EEjEEZNS1_14transform_implILb0ES3_SA_NS6_6detail15normal_iteratorINS6_10device_ptrIS9_EEEENSD_INSE_IjEEEEZNS1_13binary_searchIS3_SA_SG_SG_SI_NS1_21lower_bound_search_opENSC_16wrapped_functionINS0_4lessIvEEbEEEE10hipError_tPvRmT1_T2_T3_mmT4_T5_P12ihipStream_tbEUlRKS9_E_EESP_ST_SU_mSV_SY_bEUlT_E_NS1_11comp_targetILNS1_3genE2ELNS1_11target_archE906ELNS1_3gpuE6ELNS1_3repE0EEENS1_30default_config_static_selectorELNS0_4arch9wavefront6targetE1EEEvSS_,comdat
	.protected	_ZN7rocprim17ROCPRIM_400000_NS6detail17trampoline_kernelINS0_14default_configENS1_27lower_bound_config_selectorIN6thrust23THRUST_200600_302600_NS5tupleIffNS6_9null_typeES8_S8_S8_S8_S8_S8_S8_EEjEEZNS1_14transform_implILb0ES3_SA_NS6_6detail15normal_iteratorINS6_10device_ptrIS9_EEEENSD_INSE_IjEEEEZNS1_13binary_searchIS3_SA_SG_SG_SI_NS1_21lower_bound_search_opENSC_16wrapped_functionINS0_4lessIvEEbEEEE10hipError_tPvRmT1_T2_T3_mmT4_T5_P12ihipStream_tbEUlRKS9_E_EESP_ST_SU_mSV_SY_bEUlT_E_NS1_11comp_targetILNS1_3genE2ELNS1_11target_archE906ELNS1_3gpuE6ELNS1_3repE0EEENS1_30default_config_static_selectorELNS0_4arch9wavefront6targetE1EEEvSS_ ; -- Begin function _ZN7rocprim17ROCPRIM_400000_NS6detail17trampoline_kernelINS0_14default_configENS1_27lower_bound_config_selectorIN6thrust23THRUST_200600_302600_NS5tupleIffNS6_9null_typeES8_S8_S8_S8_S8_S8_S8_EEjEEZNS1_14transform_implILb0ES3_SA_NS6_6detail15normal_iteratorINS6_10device_ptrIS9_EEEENSD_INSE_IjEEEEZNS1_13binary_searchIS3_SA_SG_SG_SI_NS1_21lower_bound_search_opENSC_16wrapped_functionINS0_4lessIvEEbEEEE10hipError_tPvRmT1_T2_T3_mmT4_T5_P12ihipStream_tbEUlRKS9_E_EESP_ST_SU_mSV_SY_bEUlT_E_NS1_11comp_targetILNS1_3genE2ELNS1_11target_archE906ELNS1_3gpuE6ELNS1_3repE0EEENS1_30default_config_static_selectorELNS0_4arch9wavefront6targetE1EEEvSS_
	.globl	_ZN7rocprim17ROCPRIM_400000_NS6detail17trampoline_kernelINS0_14default_configENS1_27lower_bound_config_selectorIN6thrust23THRUST_200600_302600_NS5tupleIffNS6_9null_typeES8_S8_S8_S8_S8_S8_S8_EEjEEZNS1_14transform_implILb0ES3_SA_NS6_6detail15normal_iteratorINS6_10device_ptrIS9_EEEENSD_INSE_IjEEEEZNS1_13binary_searchIS3_SA_SG_SG_SI_NS1_21lower_bound_search_opENSC_16wrapped_functionINS0_4lessIvEEbEEEE10hipError_tPvRmT1_T2_T3_mmT4_T5_P12ihipStream_tbEUlRKS9_E_EESP_ST_SU_mSV_SY_bEUlT_E_NS1_11comp_targetILNS1_3genE2ELNS1_11target_archE906ELNS1_3gpuE6ELNS1_3repE0EEENS1_30default_config_static_selectorELNS0_4arch9wavefront6targetE1EEEvSS_
	.p2align	8
	.type	_ZN7rocprim17ROCPRIM_400000_NS6detail17trampoline_kernelINS0_14default_configENS1_27lower_bound_config_selectorIN6thrust23THRUST_200600_302600_NS5tupleIffNS6_9null_typeES8_S8_S8_S8_S8_S8_S8_EEjEEZNS1_14transform_implILb0ES3_SA_NS6_6detail15normal_iteratorINS6_10device_ptrIS9_EEEENSD_INSE_IjEEEEZNS1_13binary_searchIS3_SA_SG_SG_SI_NS1_21lower_bound_search_opENSC_16wrapped_functionINS0_4lessIvEEbEEEE10hipError_tPvRmT1_T2_T3_mmT4_T5_P12ihipStream_tbEUlRKS9_E_EESP_ST_SU_mSV_SY_bEUlT_E_NS1_11comp_targetILNS1_3genE2ELNS1_11target_archE906ELNS1_3gpuE6ELNS1_3repE0EEENS1_30default_config_static_selectorELNS0_4arch9wavefront6targetE1EEEvSS_,@function
_ZN7rocprim17ROCPRIM_400000_NS6detail17trampoline_kernelINS0_14default_configENS1_27lower_bound_config_selectorIN6thrust23THRUST_200600_302600_NS5tupleIffNS6_9null_typeES8_S8_S8_S8_S8_S8_S8_EEjEEZNS1_14transform_implILb0ES3_SA_NS6_6detail15normal_iteratorINS6_10device_ptrIS9_EEEENSD_INSE_IjEEEEZNS1_13binary_searchIS3_SA_SG_SG_SI_NS1_21lower_bound_search_opENSC_16wrapped_functionINS0_4lessIvEEbEEEE10hipError_tPvRmT1_T2_T3_mmT4_T5_P12ihipStream_tbEUlRKS9_E_EESP_ST_SU_mSV_SY_bEUlT_E_NS1_11comp_targetILNS1_3genE2ELNS1_11target_archE906ELNS1_3gpuE6ELNS1_3repE0EEENS1_30default_config_static_selectorELNS0_4arch9wavefront6targetE1EEEvSS_: ; @_ZN7rocprim17ROCPRIM_400000_NS6detail17trampoline_kernelINS0_14default_configENS1_27lower_bound_config_selectorIN6thrust23THRUST_200600_302600_NS5tupleIffNS6_9null_typeES8_S8_S8_S8_S8_S8_S8_EEjEEZNS1_14transform_implILb0ES3_SA_NS6_6detail15normal_iteratorINS6_10device_ptrIS9_EEEENSD_INSE_IjEEEEZNS1_13binary_searchIS3_SA_SG_SG_SI_NS1_21lower_bound_search_opENSC_16wrapped_functionINS0_4lessIvEEbEEEE10hipError_tPvRmT1_T2_T3_mmT4_T5_P12ihipStream_tbEUlRKS9_E_EESP_ST_SU_mSV_SY_bEUlT_E_NS1_11comp_targetILNS1_3genE2ELNS1_11target_archE906ELNS1_3gpuE6ELNS1_3repE0EEENS1_30default_config_static_selectorELNS0_4arch9wavefront6targetE1EEEvSS_
; %bb.0:
	.section	.rodata,"a",@progbits
	.p2align	6, 0x0
	.amdhsa_kernel _ZN7rocprim17ROCPRIM_400000_NS6detail17trampoline_kernelINS0_14default_configENS1_27lower_bound_config_selectorIN6thrust23THRUST_200600_302600_NS5tupleIffNS6_9null_typeES8_S8_S8_S8_S8_S8_S8_EEjEEZNS1_14transform_implILb0ES3_SA_NS6_6detail15normal_iteratorINS6_10device_ptrIS9_EEEENSD_INSE_IjEEEEZNS1_13binary_searchIS3_SA_SG_SG_SI_NS1_21lower_bound_search_opENSC_16wrapped_functionINS0_4lessIvEEbEEEE10hipError_tPvRmT1_T2_T3_mmT4_T5_P12ihipStream_tbEUlRKS9_E_EESP_ST_SU_mSV_SY_bEUlT_E_NS1_11comp_targetILNS1_3genE2ELNS1_11target_archE906ELNS1_3gpuE6ELNS1_3repE0EEENS1_30default_config_static_selectorELNS0_4arch9wavefront6targetE1EEEvSS_
		.amdhsa_group_segment_fixed_size 0
		.amdhsa_private_segment_fixed_size 0
		.amdhsa_kernarg_size 56
		.amdhsa_user_sgpr_count 2
		.amdhsa_user_sgpr_dispatch_ptr 0
		.amdhsa_user_sgpr_queue_ptr 0
		.amdhsa_user_sgpr_kernarg_segment_ptr 1
		.amdhsa_user_sgpr_dispatch_id 0
		.amdhsa_user_sgpr_kernarg_preload_length 0
		.amdhsa_user_sgpr_kernarg_preload_offset 0
		.amdhsa_user_sgpr_private_segment_size 0
		.amdhsa_uses_dynamic_stack 0
		.amdhsa_enable_private_segment 0
		.amdhsa_system_sgpr_workgroup_id_x 1
		.amdhsa_system_sgpr_workgroup_id_y 0
		.amdhsa_system_sgpr_workgroup_id_z 0
		.amdhsa_system_sgpr_workgroup_info 0
		.amdhsa_system_vgpr_workitem_id 0
		.amdhsa_next_free_vgpr 1
		.amdhsa_next_free_sgpr 0
		.amdhsa_accum_offset 4
		.amdhsa_reserve_vcc 0
		.amdhsa_float_round_mode_32 0
		.amdhsa_float_round_mode_16_64 0
		.amdhsa_float_denorm_mode_32 3
		.amdhsa_float_denorm_mode_16_64 3
		.amdhsa_dx10_clamp 1
		.amdhsa_ieee_mode 1
		.amdhsa_fp16_overflow 0
		.amdhsa_tg_split 0
		.amdhsa_exception_fp_ieee_invalid_op 0
		.amdhsa_exception_fp_denorm_src 0
		.amdhsa_exception_fp_ieee_div_zero 0
		.amdhsa_exception_fp_ieee_overflow 0
		.amdhsa_exception_fp_ieee_underflow 0
		.amdhsa_exception_fp_ieee_inexact 0
		.amdhsa_exception_int_div_zero 0
	.end_amdhsa_kernel
	.section	.text._ZN7rocprim17ROCPRIM_400000_NS6detail17trampoline_kernelINS0_14default_configENS1_27lower_bound_config_selectorIN6thrust23THRUST_200600_302600_NS5tupleIffNS6_9null_typeES8_S8_S8_S8_S8_S8_S8_EEjEEZNS1_14transform_implILb0ES3_SA_NS6_6detail15normal_iteratorINS6_10device_ptrIS9_EEEENSD_INSE_IjEEEEZNS1_13binary_searchIS3_SA_SG_SG_SI_NS1_21lower_bound_search_opENSC_16wrapped_functionINS0_4lessIvEEbEEEE10hipError_tPvRmT1_T2_T3_mmT4_T5_P12ihipStream_tbEUlRKS9_E_EESP_ST_SU_mSV_SY_bEUlT_E_NS1_11comp_targetILNS1_3genE2ELNS1_11target_archE906ELNS1_3gpuE6ELNS1_3repE0EEENS1_30default_config_static_selectorELNS0_4arch9wavefront6targetE1EEEvSS_,"axG",@progbits,_ZN7rocprim17ROCPRIM_400000_NS6detail17trampoline_kernelINS0_14default_configENS1_27lower_bound_config_selectorIN6thrust23THRUST_200600_302600_NS5tupleIffNS6_9null_typeES8_S8_S8_S8_S8_S8_S8_EEjEEZNS1_14transform_implILb0ES3_SA_NS6_6detail15normal_iteratorINS6_10device_ptrIS9_EEEENSD_INSE_IjEEEEZNS1_13binary_searchIS3_SA_SG_SG_SI_NS1_21lower_bound_search_opENSC_16wrapped_functionINS0_4lessIvEEbEEEE10hipError_tPvRmT1_T2_T3_mmT4_T5_P12ihipStream_tbEUlRKS9_E_EESP_ST_SU_mSV_SY_bEUlT_E_NS1_11comp_targetILNS1_3genE2ELNS1_11target_archE906ELNS1_3gpuE6ELNS1_3repE0EEENS1_30default_config_static_selectorELNS0_4arch9wavefront6targetE1EEEvSS_,comdat
.Lfunc_end143:
	.size	_ZN7rocprim17ROCPRIM_400000_NS6detail17trampoline_kernelINS0_14default_configENS1_27lower_bound_config_selectorIN6thrust23THRUST_200600_302600_NS5tupleIffNS6_9null_typeES8_S8_S8_S8_S8_S8_S8_EEjEEZNS1_14transform_implILb0ES3_SA_NS6_6detail15normal_iteratorINS6_10device_ptrIS9_EEEENSD_INSE_IjEEEEZNS1_13binary_searchIS3_SA_SG_SG_SI_NS1_21lower_bound_search_opENSC_16wrapped_functionINS0_4lessIvEEbEEEE10hipError_tPvRmT1_T2_T3_mmT4_T5_P12ihipStream_tbEUlRKS9_E_EESP_ST_SU_mSV_SY_bEUlT_E_NS1_11comp_targetILNS1_3genE2ELNS1_11target_archE906ELNS1_3gpuE6ELNS1_3repE0EEENS1_30default_config_static_selectorELNS0_4arch9wavefront6targetE1EEEvSS_, .Lfunc_end143-_ZN7rocprim17ROCPRIM_400000_NS6detail17trampoline_kernelINS0_14default_configENS1_27lower_bound_config_selectorIN6thrust23THRUST_200600_302600_NS5tupleIffNS6_9null_typeES8_S8_S8_S8_S8_S8_S8_EEjEEZNS1_14transform_implILb0ES3_SA_NS6_6detail15normal_iteratorINS6_10device_ptrIS9_EEEENSD_INSE_IjEEEEZNS1_13binary_searchIS3_SA_SG_SG_SI_NS1_21lower_bound_search_opENSC_16wrapped_functionINS0_4lessIvEEbEEEE10hipError_tPvRmT1_T2_T3_mmT4_T5_P12ihipStream_tbEUlRKS9_E_EESP_ST_SU_mSV_SY_bEUlT_E_NS1_11comp_targetILNS1_3genE2ELNS1_11target_archE906ELNS1_3gpuE6ELNS1_3repE0EEENS1_30default_config_static_selectorELNS0_4arch9wavefront6targetE1EEEvSS_
                                        ; -- End function
	.section	.AMDGPU.csdata,"",@progbits
; Kernel info:
; codeLenInByte = 0
; NumSgprs: 6
; NumVgprs: 0
; NumAgprs: 0
; TotalNumVgprs: 0
; ScratchSize: 0
; MemoryBound: 0
; FloatMode: 240
; IeeeMode: 1
; LDSByteSize: 0 bytes/workgroup (compile time only)
; SGPRBlocks: 0
; VGPRBlocks: 0
; NumSGPRsForWavesPerEU: 6
; NumVGPRsForWavesPerEU: 1
; AccumOffset: 4
; Occupancy: 8
; WaveLimiterHint : 0
; COMPUTE_PGM_RSRC2:SCRATCH_EN: 0
; COMPUTE_PGM_RSRC2:USER_SGPR: 2
; COMPUTE_PGM_RSRC2:TRAP_HANDLER: 0
; COMPUTE_PGM_RSRC2:TGID_X_EN: 1
; COMPUTE_PGM_RSRC2:TGID_Y_EN: 0
; COMPUTE_PGM_RSRC2:TGID_Z_EN: 0
; COMPUTE_PGM_RSRC2:TIDIG_COMP_CNT: 0
; COMPUTE_PGM_RSRC3_GFX90A:ACCUM_OFFSET: 0
; COMPUTE_PGM_RSRC3_GFX90A:TG_SPLIT: 0
	.section	.text._ZN7rocprim17ROCPRIM_400000_NS6detail17trampoline_kernelINS0_14default_configENS1_27lower_bound_config_selectorIN6thrust23THRUST_200600_302600_NS5tupleIffNS6_9null_typeES8_S8_S8_S8_S8_S8_S8_EEjEEZNS1_14transform_implILb0ES3_SA_NS6_6detail15normal_iteratorINS6_10device_ptrIS9_EEEENSD_INSE_IjEEEEZNS1_13binary_searchIS3_SA_SG_SG_SI_NS1_21lower_bound_search_opENSC_16wrapped_functionINS0_4lessIvEEbEEEE10hipError_tPvRmT1_T2_T3_mmT4_T5_P12ihipStream_tbEUlRKS9_E_EESP_ST_SU_mSV_SY_bEUlT_E_NS1_11comp_targetILNS1_3genE10ELNS1_11target_archE1201ELNS1_3gpuE5ELNS1_3repE0EEENS1_30default_config_static_selectorELNS0_4arch9wavefront6targetE1EEEvSS_,"axG",@progbits,_ZN7rocprim17ROCPRIM_400000_NS6detail17trampoline_kernelINS0_14default_configENS1_27lower_bound_config_selectorIN6thrust23THRUST_200600_302600_NS5tupleIffNS6_9null_typeES8_S8_S8_S8_S8_S8_S8_EEjEEZNS1_14transform_implILb0ES3_SA_NS6_6detail15normal_iteratorINS6_10device_ptrIS9_EEEENSD_INSE_IjEEEEZNS1_13binary_searchIS3_SA_SG_SG_SI_NS1_21lower_bound_search_opENSC_16wrapped_functionINS0_4lessIvEEbEEEE10hipError_tPvRmT1_T2_T3_mmT4_T5_P12ihipStream_tbEUlRKS9_E_EESP_ST_SU_mSV_SY_bEUlT_E_NS1_11comp_targetILNS1_3genE10ELNS1_11target_archE1201ELNS1_3gpuE5ELNS1_3repE0EEENS1_30default_config_static_selectorELNS0_4arch9wavefront6targetE1EEEvSS_,comdat
	.protected	_ZN7rocprim17ROCPRIM_400000_NS6detail17trampoline_kernelINS0_14default_configENS1_27lower_bound_config_selectorIN6thrust23THRUST_200600_302600_NS5tupleIffNS6_9null_typeES8_S8_S8_S8_S8_S8_S8_EEjEEZNS1_14transform_implILb0ES3_SA_NS6_6detail15normal_iteratorINS6_10device_ptrIS9_EEEENSD_INSE_IjEEEEZNS1_13binary_searchIS3_SA_SG_SG_SI_NS1_21lower_bound_search_opENSC_16wrapped_functionINS0_4lessIvEEbEEEE10hipError_tPvRmT1_T2_T3_mmT4_T5_P12ihipStream_tbEUlRKS9_E_EESP_ST_SU_mSV_SY_bEUlT_E_NS1_11comp_targetILNS1_3genE10ELNS1_11target_archE1201ELNS1_3gpuE5ELNS1_3repE0EEENS1_30default_config_static_selectorELNS0_4arch9wavefront6targetE1EEEvSS_ ; -- Begin function _ZN7rocprim17ROCPRIM_400000_NS6detail17trampoline_kernelINS0_14default_configENS1_27lower_bound_config_selectorIN6thrust23THRUST_200600_302600_NS5tupleIffNS6_9null_typeES8_S8_S8_S8_S8_S8_S8_EEjEEZNS1_14transform_implILb0ES3_SA_NS6_6detail15normal_iteratorINS6_10device_ptrIS9_EEEENSD_INSE_IjEEEEZNS1_13binary_searchIS3_SA_SG_SG_SI_NS1_21lower_bound_search_opENSC_16wrapped_functionINS0_4lessIvEEbEEEE10hipError_tPvRmT1_T2_T3_mmT4_T5_P12ihipStream_tbEUlRKS9_E_EESP_ST_SU_mSV_SY_bEUlT_E_NS1_11comp_targetILNS1_3genE10ELNS1_11target_archE1201ELNS1_3gpuE5ELNS1_3repE0EEENS1_30default_config_static_selectorELNS0_4arch9wavefront6targetE1EEEvSS_
	.globl	_ZN7rocprim17ROCPRIM_400000_NS6detail17trampoline_kernelINS0_14default_configENS1_27lower_bound_config_selectorIN6thrust23THRUST_200600_302600_NS5tupleIffNS6_9null_typeES8_S8_S8_S8_S8_S8_S8_EEjEEZNS1_14transform_implILb0ES3_SA_NS6_6detail15normal_iteratorINS6_10device_ptrIS9_EEEENSD_INSE_IjEEEEZNS1_13binary_searchIS3_SA_SG_SG_SI_NS1_21lower_bound_search_opENSC_16wrapped_functionINS0_4lessIvEEbEEEE10hipError_tPvRmT1_T2_T3_mmT4_T5_P12ihipStream_tbEUlRKS9_E_EESP_ST_SU_mSV_SY_bEUlT_E_NS1_11comp_targetILNS1_3genE10ELNS1_11target_archE1201ELNS1_3gpuE5ELNS1_3repE0EEENS1_30default_config_static_selectorELNS0_4arch9wavefront6targetE1EEEvSS_
	.p2align	8
	.type	_ZN7rocprim17ROCPRIM_400000_NS6detail17trampoline_kernelINS0_14default_configENS1_27lower_bound_config_selectorIN6thrust23THRUST_200600_302600_NS5tupleIffNS6_9null_typeES8_S8_S8_S8_S8_S8_S8_EEjEEZNS1_14transform_implILb0ES3_SA_NS6_6detail15normal_iteratorINS6_10device_ptrIS9_EEEENSD_INSE_IjEEEEZNS1_13binary_searchIS3_SA_SG_SG_SI_NS1_21lower_bound_search_opENSC_16wrapped_functionINS0_4lessIvEEbEEEE10hipError_tPvRmT1_T2_T3_mmT4_T5_P12ihipStream_tbEUlRKS9_E_EESP_ST_SU_mSV_SY_bEUlT_E_NS1_11comp_targetILNS1_3genE10ELNS1_11target_archE1201ELNS1_3gpuE5ELNS1_3repE0EEENS1_30default_config_static_selectorELNS0_4arch9wavefront6targetE1EEEvSS_,@function
_ZN7rocprim17ROCPRIM_400000_NS6detail17trampoline_kernelINS0_14default_configENS1_27lower_bound_config_selectorIN6thrust23THRUST_200600_302600_NS5tupleIffNS6_9null_typeES8_S8_S8_S8_S8_S8_S8_EEjEEZNS1_14transform_implILb0ES3_SA_NS6_6detail15normal_iteratorINS6_10device_ptrIS9_EEEENSD_INSE_IjEEEEZNS1_13binary_searchIS3_SA_SG_SG_SI_NS1_21lower_bound_search_opENSC_16wrapped_functionINS0_4lessIvEEbEEEE10hipError_tPvRmT1_T2_T3_mmT4_T5_P12ihipStream_tbEUlRKS9_E_EESP_ST_SU_mSV_SY_bEUlT_E_NS1_11comp_targetILNS1_3genE10ELNS1_11target_archE1201ELNS1_3gpuE5ELNS1_3repE0EEENS1_30default_config_static_selectorELNS0_4arch9wavefront6targetE1EEEvSS_: ; @_ZN7rocprim17ROCPRIM_400000_NS6detail17trampoline_kernelINS0_14default_configENS1_27lower_bound_config_selectorIN6thrust23THRUST_200600_302600_NS5tupleIffNS6_9null_typeES8_S8_S8_S8_S8_S8_S8_EEjEEZNS1_14transform_implILb0ES3_SA_NS6_6detail15normal_iteratorINS6_10device_ptrIS9_EEEENSD_INSE_IjEEEEZNS1_13binary_searchIS3_SA_SG_SG_SI_NS1_21lower_bound_search_opENSC_16wrapped_functionINS0_4lessIvEEbEEEE10hipError_tPvRmT1_T2_T3_mmT4_T5_P12ihipStream_tbEUlRKS9_E_EESP_ST_SU_mSV_SY_bEUlT_E_NS1_11comp_targetILNS1_3genE10ELNS1_11target_archE1201ELNS1_3gpuE5ELNS1_3repE0EEENS1_30default_config_static_selectorELNS0_4arch9wavefront6targetE1EEEvSS_
; %bb.0:
	.section	.rodata,"a",@progbits
	.p2align	6, 0x0
	.amdhsa_kernel _ZN7rocprim17ROCPRIM_400000_NS6detail17trampoline_kernelINS0_14default_configENS1_27lower_bound_config_selectorIN6thrust23THRUST_200600_302600_NS5tupleIffNS6_9null_typeES8_S8_S8_S8_S8_S8_S8_EEjEEZNS1_14transform_implILb0ES3_SA_NS6_6detail15normal_iteratorINS6_10device_ptrIS9_EEEENSD_INSE_IjEEEEZNS1_13binary_searchIS3_SA_SG_SG_SI_NS1_21lower_bound_search_opENSC_16wrapped_functionINS0_4lessIvEEbEEEE10hipError_tPvRmT1_T2_T3_mmT4_T5_P12ihipStream_tbEUlRKS9_E_EESP_ST_SU_mSV_SY_bEUlT_E_NS1_11comp_targetILNS1_3genE10ELNS1_11target_archE1201ELNS1_3gpuE5ELNS1_3repE0EEENS1_30default_config_static_selectorELNS0_4arch9wavefront6targetE1EEEvSS_
		.amdhsa_group_segment_fixed_size 0
		.amdhsa_private_segment_fixed_size 0
		.amdhsa_kernarg_size 56
		.amdhsa_user_sgpr_count 2
		.amdhsa_user_sgpr_dispatch_ptr 0
		.amdhsa_user_sgpr_queue_ptr 0
		.amdhsa_user_sgpr_kernarg_segment_ptr 1
		.amdhsa_user_sgpr_dispatch_id 0
		.amdhsa_user_sgpr_kernarg_preload_length 0
		.amdhsa_user_sgpr_kernarg_preload_offset 0
		.amdhsa_user_sgpr_private_segment_size 0
		.amdhsa_uses_dynamic_stack 0
		.amdhsa_enable_private_segment 0
		.amdhsa_system_sgpr_workgroup_id_x 1
		.amdhsa_system_sgpr_workgroup_id_y 0
		.amdhsa_system_sgpr_workgroup_id_z 0
		.amdhsa_system_sgpr_workgroup_info 0
		.amdhsa_system_vgpr_workitem_id 0
		.amdhsa_next_free_vgpr 1
		.amdhsa_next_free_sgpr 0
		.amdhsa_accum_offset 4
		.amdhsa_reserve_vcc 0
		.amdhsa_float_round_mode_32 0
		.amdhsa_float_round_mode_16_64 0
		.amdhsa_float_denorm_mode_32 3
		.amdhsa_float_denorm_mode_16_64 3
		.amdhsa_dx10_clamp 1
		.amdhsa_ieee_mode 1
		.amdhsa_fp16_overflow 0
		.amdhsa_tg_split 0
		.amdhsa_exception_fp_ieee_invalid_op 0
		.amdhsa_exception_fp_denorm_src 0
		.amdhsa_exception_fp_ieee_div_zero 0
		.amdhsa_exception_fp_ieee_overflow 0
		.amdhsa_exception_fp_ieee_underflow 0
		.amdhsa_exception_fp_ieee_inexact 0
		.amdhsa_exception_int_div_zero 0
	.end_amdhsa_kernel
	.section	.text._ZN7rocprim17ROCPRIM_400000_NS6detail17trampoline_kernelINS0_14default_configENS1_27lower_bound_config_selectorIN6thrust23THRUST_200600_302600_NS5tupleIffNS6_9null_typeES8_S8_S8_S8_S8_S8_S8_EEjEEZNS1_14transform_implILb0ES3_SA_NS6_6detail15normal_iteratorINS6_10device_ptrIS9_EEEENSD_INSE_IjEEEEZNS1_13binary_searchIS3_SA_SG_SG_SI_NS1_21lower_bound_search_opENSC_16wrapped_functionINS0_4lessIvEEbEEEE10hipError_tPvRmT1_T2_T3_mmT4_T5_P12ihipStream_tbEUlRKS9_E_EESP_ST_SU_mSV_SY_bEUlT_E_NS1_11comp_targetILNS1_3genE10ELNS1_11target_archE1201ELNS1_3gpuE5ELNS1_3repE0EEENS1_30default_config_static_selectorELNS0_4arch9wavefront6targetE1EEEvSS_,"axG",@progbits,_ZN7rocprim17ROCPRIM_400000_NS6detail17trampoline_kernelINS0_14default_configENS1_27lower_bound_config_selectorIN6thrust23THRUST_200600_302600_NS5tupleIffNS6_9null_typeES8_S8_S8_S8_S8_S8_S8_EEjEEZNS1_14transform_implILb0ES3_SA_NS6_6detail15normal_iteratorINS6_10device_ptrIS9_EEEENSD_INSE_IjEEEEZNS1_13binary_searchIS3_SA_SG_SG_SI_NS1_21lower_bound_search_opENSC_16wrapped_functionINS0_4lessIvEEbEEEE10hipError_tPvRmT1_T2_T3_mmT4_T5_P12ihipStream_tbEUlRKS9_E_EESP_ST_SU_mSV_SY_bEUlT_E_NS1_11comp_targetILNS1_3genE10ELNS1_11target_archE1201ELNS1_3gpuE5ELNS1_3repE0EEENS1_30default_config_static_selectorELNS0_4arch9wavefront6targetE1EEEvSS_,comdat
.Lfunc_end144:
	.size	_ZN7rocprim17ROCPRIM_400000_NS6detail17trampoline_kernelINS0_14default_configENS1_27lower_bound_config_selectorIN6thrust23THRUST_200600_302600_NS5tupleIffNS6_9null_typeES8_S8_S8_S8_S8_S8_S8_EEjEEZNS1_14transform_implILb0ES3_SA_NS6_6detail15normal_iteratorINS6_10device_ptrIS9_EEEENSD_INSE_IjEEEEZNS1_13binary_searchIS3_SA_SG_SG_SI_NS1_21lower_bound_search_opENSC_16wrapped_functionINS0_4lessIvEEbEEEE10hipError_tPvRmT1_T2_T3_mmT4_T5_P12ihipStream_tbEUlRKS9_E_EESP_ST_SU_mSV_SY_bEUlT_E_NS1_11comp_targetILNS1_3genE10ELNS1_11target_archE1201ELNS1_3gpuE5ELNS1_3repE0EEENS1_30default_config_static_selectorELNS0_4arch9wavefront6targetE1EEEvSS_, .Lfunc_end144-_ZN7rocprim17ROCPRIM_400000_NS6detail17trampoline_kernelINS0_14default_configENS1_27lower_bound_config_selectorIN6thrust23THRUST_200600_302600_NS5tupleIffNS6_9null_typeES8_S8_S8_S8_S8_S8_S8_EEjEEZNS1_14transform_implILb0ES3_SA_NS6_6detail15normal_iteratorINS6_10device_ptrIS9_EEEENSD_INSE_IjEEEEZNS1_13binary_searchIS3_SA_SG_SG_SI_NS1_21lower_bound_search_opENSC_16wrapped_functionINS0_4lessIvEEbEEEE10hipError_tPvRmT1_T2_T3_mmT4_T5_P12ihipStream_tbEUlRKS9_E_EESP_ST_SU_mSV_SY_bEUlT_E_NS1_11comp_targetILNS1_3genE10ELNS1_11target_archE1201ELNS1_3gpuE5ELNS1_3repE0EEENS1_30default_config_static_selectorELNS0_4arch9wavefront6targetE1EEEvSS_
                                        ; -- End function
	.section	.AMDGPU.csdata,"",@progbits
; Kernel info:
; codeLenInByte = 0
; NumSgprs: 6
; NumVgprs: 0
; NumAgprs: 0
; TotalNumVgprs: 0
; ScratchSize: 0
; MemoryBound: 0
; FloatMode: 240
; IeeeMode: 1
; LDSByteSize: 0 bytes/workgroup (compile time only)
; SGPRBlocks: 0
; VGPRBlocks: 0
; NumSGPRsForWavesPerEU: 6
; NumVGPRsForWavesPerEU: 1
; AccumOffset: 4
; Occupancy: 8
; WaveLimiterHint : 0
; COMPUTE_PGM_RSRC2:SCRATCH_EN: 0
; COMPUTE_PGM_RSRC2:USER_SGPR: 2
; COMPUTE_PGM_RSRC2:TRAP_HANDLER: 0
; COMPUTE_PGM_RSRC2:TGID_X_EN: 1
; COMPUTE_PGM_RSRC2:TGID_Y_EN: 0
; COMPUTE_PGM_RSRC2:TGID_Z_EN: 0
; COMPUTE_PGM_RSRC2:TIDIG_COMP_CNT: 0
; COMPUTE_PGM_RSRC3_GFX90A:ACCUM_OFFSET: 0
; COMPUTE_PGM_RSRC3_GFX90A:TG_SPLIT: 0
	.section	.text._ZN7rocprim17ROCPRIM_400000_NS6detail17trampoline_kernelINS0_14default_configENS1_27lower_bound_config_selectorIN6thrust23THRUST_200600_302600_NS5tupleIffNS6_9null_typeES8_S8_S8_S8_S8_S8_S8_EEjEEZNS1_14transform_implILb0ES3_SA_NS6_6detail15normal_iteratorINS6_10device_ptrIS9_EEEENSD_INSE_IjEEEEZNS1_13binary_searchIS3_SA_SG_SG_SI_NS1_21lower_bound_search_opENSC_16wrapped_functionINS0_4lessIvEEbEEEE10hipError_tPvRmT1_T2_T3_mmT4_T5_P12ihipStream_tbEUlRKS9_E_EESP_ST_SU_mSV_SY_bEUlT_E_NS1_11comp_targetILNS1_3genE10ELNS1_11target_archE1200ELNS1_3gpuE4ELNS1_3repE0EEENS1_30default_config_static_selectorELNS0_4arch9wavefront6targetE1EEEvSS_,"axG",@progbits,_ZN7rocprim17ROCPRIM_400000_NS6detail17trampoline_kernelINS0_14default_configENS1_27lower_bound_config_selectorIN6thrust23THRUST_200600_302600_NS5tupleIffNS6_9null_typeES8_S8_S8_S8_S8_S8_S8_EEjEEZNS1_14transform_implILb0ES3_SA_NS6_6detail15normal_iteratorINS6_10device_ptrIS9_EEEENSD_INSE_IjEEEEZNS1_13binary_searchIS3_SA_SG_SG_SI_NS1_21lower_bound_search_opENSC_16wrapped_functionINS0_4lessIvEEbEEEE10hipError_tPvRmT1_T2_T3_mmT4_T5_P12ihipStream_tbEUlRKS9_E_EESP_ST_SU_mSV_SY_bEUlT_E_NS1_11comp_targetILNS1_3genE10ELNS1_11target_archE1200ELNS1_3gpuE4ELNS1_3repE0EEENS1_30default_config_static_selectorELNS0_4arch9wavefront6targetE1EEEvSS_,comdat
	.protected	_ZN7rocprim17ROCPRIM_400000_NS6detail17trampoline_kernelINS0_14default_configENS1_27lower_bound_config_selectorIN6thrust23THRUST_200600_302600_NS5tupleIffNS6_9null_typeES8_S8_S8_S8_S8_S8_S8_EEjEEZNS1_14transform_implILb0ES3_SA_NS6_6detail15normal_iteratorINS6_10device_ptrIS9_EEEENSD_INSE_IjEEEEZNS1_13binary_searchIS3_SA_SG_SG_SI_NS1_21lower_bound_search_opENSC_16wrapped_functionINS0_4lessIvEEbEEEE10hipError_tPvRmT1_T2_T3_mmT4_T5_P12ihipStream_tbEUlRKS9_E_EESP_ST_SU_mSV_SY_bEUlT_E_NS1_11comp_targetILNS1_3genE10ELNS1_11target_archE1200ELNS1_3gpuE4ELNS1_3repE0EEENS1_30default_config_static_selectorELNS0_4arch9wavefront6targetE1EEEvSS_ ; -- Begin function _ZN7rocprim17ROCPRIM_400000_NS6detail17trampoline_kernelINS0_14default_configENS1_27lower_bound_config_selectorIN6thrust23THRUST_200600_302600_NS5tupleIffNS6_9null_typeES8_S8_S8_S8_S8_S8_S8_EEjEEZNS1_14transform_implILb0ES3_SA_NS6_6detail15normal_iteratorINS6_10device_ptrIS9_EEEENSD_INSE_IjEEEEZNS1_13binary_searchIS3_SA_SG_SG_SI_NS1_21lower_bound_search_opENSC_16wrapped_functionINS0_4lessIvEEbEEEE10hipError_tPvRmT1_T2_T3_mmT4_T5_P12ihipStream_tbEUlRKS9_E_EESP_ST_SU_mSV_SY_bEUlT_E_NS1_11comp_targetILNS1_3genE10ELNS1_11target_archE1200ELNS1_3gpuE4ELNS1_3repE0EEENS1_30default_config_static_selectorELNS0_4arch9wavefront6targetE1EEEvSS_
	.globl	_ZN7rocprim17ROCPRIM_400000_NS6detail17trampoline_kernelINS0_14default_configENS1_27lower_bound_config_selectorIN6thrust23THRUST_200600_302600_NS5tupleIffNS6_9null_typeES8_S8_S8_S8_S8_S8_S8_EEjEEZNS1_14transform_implILb0ES3_SA_NS6_6detail15normal_iteratorINS6_10device_ptrIS9_EEEENSD_INSE_IjEEEEZNS1_13binary_searchIS3_SA_SG_SG_SI_NS1_21lower_bound_search_opENSC_16wrapped_functionINS0_4lessIvEEbEEEE10hipError_tPvRmT1_T2_T3_mmT4_T5_P12ihipStream_tbEUlRKS9_E_EESP_ST_SU_mSV_SY_bEUlT_E_NS1_11comp_targetILNS1_3genE10ELNS1_11target_archE1200ELNS1_3gpuE4ELNS1_3repE0EEENS1_30default_config_static_selectorELNS0_4arch9wavefront6targetE1EEEvSS_
	.p2align	8
	.type	_ZN7rocprim17ROCPRIM_400000_NS6detail17trampoline_kernelINS0_14default_configENS1_27lower_bound_config_selectorIN6thrust23THRUST_200600_302600_NS5tupleIffNS6_9null_typeES8_S8_S8_S8_S8_S8_S8_EEjEEZNS1_14transform_implILb0ES3_SA_NS6_6detail15normal_iteratorINS6_10device_ptrIS9_EEEENSD_INSE_IjEEEEZNS1_13binary_searchIS3_SA_SG_SG_SI_NS1_21lower_bound_search_opENSC_16wrapped_functionINS0_4lessIvEEbEEEE10hipError_tPvRmT1_T2_T3_mmT4_T5_P12ihipStream_tbEUlRKS9_E_EESP_ST_SU_mSV_SY_bEUlT_E_NS1_11comp_targetILNS1_3genE10ELNS1_11target_archE1200ELNS1_3gpuE4ELNS1_3repE0EEENS1_30default_config_static_selectorELNS0_4arch9wavefront6targetE1EEEvSS_,@function
_ZN7rocprim17ROCPRIM_400000_NS6detail17trampoline_kernelINS0_14default_configENS1_27lower_bound_config_selectorIN6thrust23THRUST_200600_302600_NS5tupleIffNS6_9null_typeES8_S8_S8_S8_S8_S8_S8_EEjEEZNS1_14transform_implILb0ES3_SA_NS6_6detail15normal_iteratorINS6_10device_ptrIS9_EEEENSD_INSE_IjEEEEZNS1_13binary_searchIS3_SA_SG_SG_SI_NS1_21lower_bound_search_opENSC_16wrapped_functionINS0_4lessIvEEbEEEE10hipError_tPvRmT1_T2_T3_mmT4_T5_P12ihipStream_tbEUlRKS9_E_EESP_ST_SU_mSV_SY_bEUlT_E_NS1_11comp_targetILNS1_3genE10ELNS1_11target_archE1200ELNS1_3gpuE4ELNS1_3repE0EEENS1_30default_config_static_selectorELNS0_4arch9wavefront6targetE1EEEvSS_: ; @_ZN7rocprim17ROCPRIM_400000_NS6detail17trampoline_kernelINS0_14default_configENS1_27lower_bound_config_selectorIN6thrust23THRUST_200600_302600_NS5tupleIffNS6_9null_typeES8_S8_S8_S8_S8_S8_S8_EEjEEZNS1_14transform_implILb0ES3_SA_NS6_6detail15normal_iteratorINS6_10device_ptrIS9_EEEENSD_INSE_IjEEEEZNS1_13binary_searchIS3_SA_SG_SG_SI_NS1_21lower_bound_search_opENSC_16wrapped_functionINS0_4lessIvEEbEEEE10hipError_tPvRmT1_T2_T3_mmT4_T5_P12ihipStream_tbEUlRKS9_E_EESP_ST_SU_mSV_SY_bEUlT_E_NS1_11comp_targetILNS1_3genE10ELNS1_11target_archE1200ELNS1_3gpuE4ELNS1_3repE0EEENS1_30default_config_static_selectorELNS0_4arch9wavefront6targetE1EEEvSS_
; %bb.0:
	.section	.rodata,"a",@progbits
	.p2align	6, 0x0
	.amdhsa_kernel _ZN7rocprim17ROCPRIM_400000_NS6detail17trampoline_kernelINS0_14default_configENS1_27lower_bound_config_selectorIN6thrust23THRUST_200600_302600_NS5tupleIffNS6_9null_typeES8_S8_S8_S8_S8_S8_S8_EEjEEZNS1_14transform_implILb0ES3_SA_NS6_6detail15normal_iteratorINS6_10device_ptrIS9_EEEENSD_INSE_IjEEEEZNS1_13binary_searchIS3_SA_SG_SG_SI_NS1_21lower_bound_search_opENSC_16wrapped_functionINS0_4lessIvEEbEEEE10hipError_tPvRmT1_T2_T3_mmT4_T5_P12ihipStream_tbEUlRKS9_E_EESP_ST_SU_mSV_SY_bEUlT_E_NS1_11comp_targetILNS1_3genE10ELNS1_11target_archE1200ELNS1_3gpuE4ELNS1_3repE0EEENS1_30default_config_static_selectorELNS0_4arch9wavefront6targetE1EEEvSS_
		.amdhsa_group_segment_fixed_size 0
		.amdhsa_private_segment_fixed_size 0
		.amdhsa_kernarg_size 56
		.amdhsa_user_sgpr_count 2
		.amdhsa_user_sgpr_dispatch_ptr 0
		.amdhsa_user_sgpr_queue_ptr 0
		.amdhsa_user_sgpr_kernarg_segment_ptr 1
		.amdhsa_user_sgpr_dispatch_id 0
		.amdhsa_user_sgpr_kernarg_preload_length 0
		.amdhsa_user_sgpr_kernarg_preload_offset 0
		.amdhsa_user_sgpr_private_segment_size 0
		.amdhsa_uses_dynamic_stack 0
		.amdhsa_enable_private_segment 0
		.amdhsa_system_sgpr_workgroup_id_x 1
		.amdhsa_system_sgpr_workgroup_id_y 0
		.amdhsa_system_sgpr_workgroup_id_z 0
		.amdhsa_system_sgpr_workgroup_info 0
		.amdhsa_system_vgpr_workitem_id 0
		.amdhsa_next_free_vgpr 1
		.amdhsa_next_free_sgpr 0
		.amdhsa_accum_offset 4
		.amdhsa_reserve_vcc 0
		.amdhsa_float_round_mode_32 0
		.amdhsa_float_round_mode_16_64 0
		.amdhsa_float_denorm_mode_32 3
		.amdhsa_float_denorm_mode_16_64 3
		.amdhsa_dx10_clamp 1
		.amdhsa_ieee_mode 1
		.amdhsa_fp16_overflow 0
		.amdhsa_tg_split 0
		.amdhsa_exception_fp_ieee_invalid_op 0
		.amdhsa_exception_fp_denorm_src 0
		.amdhsa_exception_fp_ieee_div_zero 0
		.amdhsa_exception_fp_ieee_overflow 0
		.amdhsa_exception_fp_ieee_underflow 0
		.amdhsa_exception_fp_ieee_inexact 0
		.amdhsa_exception_int_div_zero 0
	.end_amdhsa_kernel
	.section	.text._ZN7rocprim17ROCPRIM_400000_NS6detail17trampoline_kernelINS0_14default_configENS1_27lower_bound_config_selectorIN6thrust23THRUST_200600_302600_NS5tupleIffNS6_9null_typeES8_S8_S8_S8_S8_S8_S8_EEjEEZNS1_14transform_implILb0ES3_SA_NS6_6detail15normal_iteratorINS6_10device_ptrIS9_EEEENSD_INSE_IjEEEEZNS1_13binary_searchIS3_SA_SG_SG_SI_NS1_21lower_bound_search_opENSC_16wrapped_functionINS0_4lessIvEEbEEEE10hipError_tPvRmT1_T2_T3_mmT4_T5_P12ihipStream_tbEUlRKS9_E_EESP_ST_SU_mSV_SY_bEUlT_E_NS1_11comp_targetILNS1_3genE10ELNS1_11target_archE1200ELNS1_3gpuE4ELNS1_3repE0EEENS1_30default_config_static_selectorELNS0_4arch9wavefront6targetE1EEEvSS_,"axG",@progbits,_ZN7rocprim17ROCPRIM_400000_NS6detail17trampoline_kernelINS0_14default_configENS1_27lower_bound_config_selectorIN6thrust23THRUST_200600_302600_NS5tupleIffNS6_9null_typeES8_S8_S8_S8_S8_S8_S8_EEjEEZNS1_14transform_implILb0ES3_SA_NS6_6detail15normal_iteratorINS6_10device_ptrIS9_EEEENSD_INSE_IjEEEEZNS1_13binary_searchIS3_SA_SG_SG_SI_NS1_21lower_bound_search_opENSC_16wrapped_functionINS0_4lessIvEEbEEEE10hipError_tPvRmT1_T2_T3_mmT4_T5_P12ihipStream_tbEUlRKS9_E_EESP_ST_SU_mSV_SY_bEUlT_E_NS1_11comp_targetILNS1_3genE10ELNS1_11target_archE1200ELNS1_3gpuE4ELNS1_3repE0EEENS1_30default_config_static_selectorELNS0_4arch9wavefront6targetE1EEEvSS_,comdat
.Lfunc_end145:
	.size	_ZN7rocprim17ROCPRIM_400000_NS6detail17trampoline_kernelINS0_14default_configENS1_27lower_bound_config_selectorIN6thrust23THRUST_200600_302600_NS5tupleIffNS6_9null_typeES8_S8_S8_S8_S8_S8_S8_EEjEEZNS1_14transform_implILb0ES3_SA_NS6_6detail15normal_iteratorINS6_10device_ptrIS9_EEEENSD_INSE_IjEEEEZNS1_13binary_searchIS3_SA_SG_SG_SI_NS1_21lower_bound_search_opENSC_16wrapped_functionINS0_4lessIvEEbEEEE10hipError_tPvRmT1_T2_T3_mmT4_T5_P12ihipStream_tbEUlRKS9_E_EESP_ST_SU_mSV_SY_bEUlT_E_NS1_11comp_targetILNS1_3genE10ELNS1_11target_archE1200ELNS1_3gpuE4ELNS1_3repE0EEENS1_30default_config_static_selectorELNS0_4arch9wavefront6targetE1EEEvSS_, .Lfunc_end145-_ZN7rocprim17ROCPRIM_400000_NS6detail17trampoline_kernelINS0_14default_configENS1_27lower_bound_config_selectorIN6thrust23THRUST_200600_302600_NS5tupleIffNS6_9null_typeES8_S8_S8_S8_S8_S8_S8_EEjEEZNS1_14transform_implILb0ES3_SA_NS6_6detail15normal_iteratorINS6_10device_ptrIS9_EEEENSD_INSE_IjEEEEZNS1_13binary_searchIS3_SA_SG_SG_SI_NS1_21lower_bound_search_opENSC_16wrapped_functionINS0_4lessIvEEbEEEE10hipError_tPvRmT1_T2_T3_mmT4_T5_P12ihipStream_tbEUlRKS9_E_EESP_ST_SU_mSV_SY_bEUlT_E_NS1_11comp_targetILNS1_3genE10ELNS1_11target_archE1200ELNS1_3gpuE4ELNS1_3repE0EEENS1_30default_config_static_selectorELNS0_4arch9wavefront6targetE1EEEvSS_
                                        ; -- End function
	.section	.AMDGPU.csdata,"",@progbits
; Kernel info:
; codeLenInByte = 0
; NumSgprs: 6
; NumVgprs: 0
; NumAgprs: 0
; TotalNumVgprs: 0
; ScratchSize: 0
; MemoryBound: 0
; FloatMode: 240
; IeeeMode: 1
; LDSByteSize: 0 bytes/workgroup (compile time only)
; SGPRBlocks: 0
; VGPRBlocks: 0
; NumSGPRsForWavesPerEU: 6
; NumVGPRsForWavesPerEU: 1
; AccumOffset: 4
; Occupancy: 8
; WaveLimiterHint : 0
; COMPUTE_PGM_RSRC2:SCRATCH_EN: 0
; COMPUTE_PGM_RSRC2:USER_SGPR: 2
; COMPUTE_PGM_RSRC2:TRAP_HANDLER: 0
; COMPUTE_PGM_RSRC2:TGID_X_EN: 1
; COMPUTE_PGM_RSRC2:TGID_Y_EN: 0
; COMPUTE_PGM_RSRC2:TGID_Z_EN: 0
; COMPUTE_PGM_RSRC2:TIDIG_COMP_CNT: 0
; COMPUTE_PGM_RSRC3_GFX90A:ACCUM_OFFSET: 0
; COMPUTE_PGM_RSRC3_GFX90A:TG_SPLIT: 0
	.section	.text._ZN7rocprim17ROCPRIM_400000_NS6detail17trampoline_kernelINS0_14default_configENS1_27lower_bound_config_selectorIN6thrust23THRUST_200600_302600_NS5tupleIffNS6_9null_typeES8_S8_S8_S8_S8_S8_S8_EEjEEZNS1_14transform_implILb0ES3_SA_NS6_6detail15normal_iteratorINS6_10device_ptrIS9_EEEENSD_INSE_IjEEEEZNS1_13binary_searchIS3_SA_SG_SG_SI_NS1_21lower_bound_search_opENSC_16wrapped_functionINS0_4lessIvEEbEEEE10hipError_tPvRmT1_T2_T3_mmT4_T5_P12ihipStream_tbEUlRKS9_E_EESP_ST_SU_mSV_SY_bEUlT_E_NS1_11comp_targetILNS1_3genE9ELNS1_11target_archE1100ELNS1_3gpuE3ELNS1_3repE0EEENS1_30default_config_static_selectorELNS0_4arch9wavefront6targetE1EEEvSS_,"axG",@progbits,_ZN7rocprim17ROCPRIM_400000_NS6detail17trampoline_kernelINS0_14default_configENS1_27lower_bound_config_selectorIN6thrust23THRUST_200600_302600_NS5tupleIffNS6_9null_typeES8_S8_S8_S8_S8_S8_S8_EEjEEZNS1_14transform_implILb0ES3_SA_NS6_6detail15normal_iteratorINS6_10device_ptrIS9_EEEENSD_INSE_IjEEEEZNS1_13binary_searchIS3_SA_SG_SG_SI_NS1_21lower_bound_search_opENSC_16wrapped_functionINS0_4lessIvEEbEEEE10hipError_tPvRmT1_T2_T3_mmT4_T5_P12ihipStream_tbEUlRKS9_E_EESP_ST_SU_mSV_SY_bEUlT_E_NS1_11comp_targetILNS1_3genE9ELNS1_11target_archE1100ELNS1_3gpuE3ELNS1_3repE0EEENS1_30default_config_static_selectorELNS0_4arch9wavefront6targetE1EEEvSS_,comdat
	.protected	_ZN7rocprim17ROCPRIM_400000_NS6detail17trampoline_kernelINS0_14default_configENS1_27lower_bound_config_selectorIN6thrust23THRUST_200600_302600_NS5tupleIffNS6_9null_typeES8_S8_S8_S8_S8_S8_S8_EEjEEZNS1_14transform_implILb0ES3_SA_NS6_6detail15normal_iteratorINS6_10device_ptrIS9_EEEENSD_INSE_IjEEEEZNS1_13binary_searchIS3_SA_SG_SG_SI_NS1_21lower_bound_search_opENSC_16wrapped_functionINS0_4lessIvEEbEEEE10hipError_tPvRmT1_T2_T3_mmT4_T5_P12ihipStream_tbEUlRKS9_E_EESP_ST_SU_mSV_SY_bEUlT_E_NS1_11comp_targetILNS1_3genE9ELNS1_11target_archE1100ELNS1_3gpuE3ELNS1_3repE0EEENS1_30default_config_static_selectorELNS0_4arch9wavefront6targetE1EEEvSS_ ; -- Begin function _ZN7rocprim17ROCPRIM_400000_NS6detail17trampoline_kernelINS0_14default_configENS1_27lower_bound_config_selectorIN6thrust23THRUST_200600_302600_NS5tupleIffNS6_9null_typeES8_S8_S8_S8_S8_S8_S8_EEjEEZNS1_14transform_implILb0ES3_SA_NS6_6detail15normal_iteratorINS6_10device_ptrIS9_EEEENSD_INSE_IjEEEEZNS1_13binary_searchIS3_SA_SG_SG_SI_NS1_21lower_bound_search_opENSC_16wrapped_functionINS0_4lessIvEEbEEEE10hipError_tPvRmT1_T2_T3_mmT4_T5_P12ihipStream_tbEUlRKS9_E_EESP_ST_SU_mSV_SY_bEUlT_E_NS1_11comp_targetILNS1_3genE9ELNS1_11target_archE1100ELNS1_3gpuE3ELNS1_3repE0EEENS1_30default_config_static_selectorELNS0_4arch9wavefront6targetE1EEEvSS_
	.globl	_ZN7rocprim17ROCPRIM_400000_NS6detail17trampoline_kernelINS0_14default_configENS1_27lower_bound_config_selectorIN6thrust23THRUST_200600_302600_NS5tupleIffNS6_9null_typeES8_S8_S8_S8_S8_S8_S8_EEjEEZNS1_14transform_implILb0ES3_SA_NS6_6detail15normal_iteratorINS6_10device_ptrIS9_EEEENSD_INSE_IjEEEEZNS1_13binary_searchIS3_SA_SG_SG_SI_NS1_21lower_bound_search_opENSC_16wrapped_functionINS0_4lessIvEEbEEEE10hipError_tPvRmT1_T2_T3_mmT4_T5_P12ihipStream_tbEUlRKS9_E_EESP_ST_SU_mSV_SY_bEUlT_E_NS1_11comp_targetILNS1_3genE9ELNS1_11target_archE1100ELNS1_3gpuE3ELNS1_3repE0EEENS1_30default_config_static_selectorELNS0_4arch9wavefront6targetE1EEEvSS_
	.p2align	8
	.type	_ZN7rocprim17ROCPRIM_400000_NS6detail17trampoline_kernelINS0_14default_configENS1_27lower_bound_config_selectorIN6thrust23THRUST_200600_302600_NS5tupleIffNS6_9null_typeES8_S8_S8_S8_S8_S8_S8_EEjEEZNS1_14transform_implILb0ES3_SA_NS6_6detail15normal_iteratorINS6_10device_ptrIS9_EEEENSD_INSE_IjEEEEZNS1_13binary_searchIS3_SA_SG_SG_SI_NS1_21lower_bound_search_opENSC_16wrapped_functionINS0_4lessIvEEbEEEE10hipError_tPvRmT1_T2_T3_mmT4_T5_P12ihipStream_tbEUlRKS9_E_EESP_ST_SU_mSV_SY_bEUlT_E_NS1_11comp_targetILNS1_3genE9ELNS1_11target_archE1100ELNS1_3gpuE3ELNS1_3repE0EEENS1_30default_config_static_selectorELNS0_4arch9wavefront6targetE1EEEvSS_,@function
_ZN7rocprim17ROCPRIM_400000_NS6detail17trampoline_kernelINS0_14default_configENS1_27lower_bound_config_selectorIN6thrust23THRUST_200600_302600_NS5tupleIffNS6_9null_typeES8_S8_S8_S8_S8_S8_S8_EEjEEZNS1_14transform_implILb0ES3_SA_NS6_6detail15normal_iteratorINS6_10device_ptrIS9_EEEENSD_INSE_IjEEEEZNS1_13binary_searchIS3_SA_SG_SG_SI_NS1_21lower_bound_search_opENSC_16wrapped_functionINS0_4lessIvEEbEEEE10hipError_tPvRmT1_T2_T3_mmT4_T5_P12ihipStream_tbEUlRKS9_E_EESP_ST_SU_mSV_SY_bEUlT_E_NS1_11comp_targetILNS1_3genE9ELNS1_11target_archE1100ELNS1_3gpuE3ELNS1_3repE0EEENS1_30default_config_static_selectorELNS0_4arch9wavefront6targetE1EEEvSS_: ; @_ZN7rocprim17ROCPRIM_400000_NS6detail17trampoline_kernelINS0_14default_configENS1_27lower_bound_config_selectorIN6thrust23THRUST_200600_302600_NS5tupleIffNS6_9null_typeES8_S8_S8_S8_S8_S8_S8_EEjEEZNS1_14transform_implILb0ES3_SA_NS6_6detail15normal_iteratorINS6_10device_ptrIS9_EEEENSD_INSE_IjEEEEZNS1_13binary_searchIS3_SA_SG_SG_SI_NS1_21lower_bound_search_opENSC_16wrapped_functionINS0_4lessIvEEbEEEE10hipError_tPvRmT1_T2_T3_mmT4_T5_P12ihipStream_tbEUlRKS9_E_EESP_ST_SU_mSV_SY_bEUlT_E_NS1_11comp_targetILNS1_3genE9ELNS1_11target_archE1100ELNS1_3gpuE3ELNS1_3repE0EEENS1_30default_config_static_selectorELNS0_4arch9wavefront6targetE1EEEvSS_
; %bb.0:
	.section	.rodata,"a",@progbits
	.p2align	6, 0x0
	.amdhsa_kernel _ZN7rocprim17ROCPRIM_400000_NS6detail17trampoline_kernelINS0_14default_configENS1_27lower_bound_config_selectorIN6thrust23THRUST_200600_302600_NS5tupleIffNS6_9null_typeES8_S8_S8_S8_S8_S8_S8_EEjEEZNS1_14transform_implILb0ES3_SA_NS6_6detail15normal_iteratorINS6_10device_ptrIS9_EEEENSD_INSE_IjEEEEZNS1_13binary_searchIS3_SA_SG_SG_SI_NS1_21lower_bound_search_opENSC_16wrapped_functionINS0_4lessIvEEbEEEE10hipError_tPvRmT1_T2_T3_mmT4_T5_P12ihipStream_tbEUlRKS9_E_EESP_ST_SU_mSV_SY_bEUlT_E_NS1_11comp_targetILNS1_3genE9ELNS1_11target_archE1100ELNS1_3gpuE3ELNS1_3repE0EEENS1_30default_config_static_selectorELNS0_4arch9wavefront6targetE1EEEvSS_
		.amdhsa_group_segment_fixed_size 0
		.amdhsa_private_segment_fixed_size 0
		.amdhsa_kernarg_size 56
		.amdhsa_user_sgpr_count 2
		.amdhsa_user_sgpr_dispatch_ptr 0
		.amdhsa_user_sgpr_queue_ptr 0
		.amdhsa_user_sgpr_kernarg_segment_ptr 1
		.amdhsa_user_sgpr_dispatch_id 0
		.amdhsa_user_sgpr_kernarg_preload_length 0
		.amdhsa_user_sgpr_kernarg_preload_offset 0
		.amdhsa_user_sgpr_private_segment_size 0
		.amdhsa_uses_dynamic_stack 0
		.amdhsa_enable_private_segment 0
		.amdhsa_system_sgpr_workgroup_id_x 1
		.amdhsa_system_sgpr_workgroup_id_y 0
		.amdhsa_system_sgpr_workgroup_id_z 0
		.amdhsa_system_sgpr_workgroup_info 0
		.amdhsa_system_vgpr_workitem_id 0
		.amdhsa_next_free_vgpr 1
		.amdhsa_next_free_sgpr 0
		.amdhsa_accum_offset 4
		.amdhsa_reserve_vcc 0
		.amdhsa_float_round_mode_32 0
		.amdhsa_float_round_mode_16_64 0
		.amdhsa_float_denorm_mode_32 3
		.amdhsa_float_denorm_mode_16_64 3
		.amdhsa_dx10_clamp 1
		.amdhsa_ieee_mode 1
		.amdhsa_fp16_overflow 0
		.amdhsa_tg_split 0
		.amdhsa_exception_fp_ieee_invalid_op 0
		.amdhsa_exception_fp_denorm_src 0
		.amdhsa_exception_fp_ieee_div_zero 0
		.amdhsa_exception_fp_ieee_overflow 0
		.amdhsa_exception_fp_ieee_underflow 0
		.amdhsa_exception_fp_ieee_inexact 0
		.amdhsa_exception_int_div_zero 0
	.end_amdhsa_kernel
	.section	.text._ZN7rocprim17ROCPRIM_400000_NS6detail17trampoline_kernelINS0_14default_configENS1_27lower_bound_config_selectorIN6thrust23THRUST_200600_302600_NS5tupleIffNS6_9null_typeES8_S8_S8_S8_S8_S8_S8_EEjEEZNS1_14transform_implILb0ES3_SA_NS6_6detail15normal_iteratorINS6_10device_ptrIS9_EEEENSD_INSE_IjEEEEZNS1_13binary_searchIS3_SA_SG_SG_SI_NS1_21lower_bound_search_opENSC_16wrapped_functionINS0_4lessIvEEbEEEE10hipError_tPvRmT1_T2_T3_mmT4_T5_P12ihipStream_tbEUlRKS9_E_EESP_ST_SU_mSV_SY_bEUlT_E_NS1_11comp_targetILNS1_3genE9ELNS1_11target_archE1100ELNS1_3gpuE3ELNS1_3repE0EEENS1_30default_config_static_selectorELNS0_4arch9wavefront6targetE1EEEvSS_,"axG",@progbits,_ZN7rocprim17ROCPRIM_400000_NS6detail17trampoline_kernelINS0_14default_configENS1_27lower_bound_config_selectorIN6thrust23THRUST_200600_302600_NS5tupleIffNS6_9null_typeES8_S8_S8_S8_S8_S8_S8_EEjEEZNS1_14transform_implILb0ES3_SA_NS6_6detail15normal_iteratorINS6_10device_ptrIS9_EEEENSD_INSE_IjEEEEZNS1_13binary_searchIS3_SA_SG_SG_SI_NS1_21lower_bound_search_opENSC_16wrapped_functionINS0_4lessIvEEbEEEE10hipError_tPvRmT1_T2_T3_mmT4_T5_P12ihipStream_tbEUlRKS9_E_EESP_ST_SU_mSV_SY_bEUlT_E_NS1_11comp_targetILNS1_3genE9ELNS1_11target_archE1100ELNS1_3gpuE3ELNS1_3repE0EEENS1_30default_config_static_selectorELNS0_4arch9wavefront6targetE1EEEvSS_,comdat
.Lfunc_end146:
	.size	_ZN7rocprim17ROCPRIM_400000_NS6detail17trampoline_kernelINS0_14default_configENS1_27lower_bound_config_selectorIN6thrust23THRUST_200600_302600_NS5tupleIffNS6_9null_typeES8_S8_S8_S8_S8_S8_S8_EEjEEZNS1_14transform_implILb0ES3_SA_NS6_6detail15normal_iteratorINS6_10device_ptrIS9_EEEENSD_INSE_IjEEEEZNS1_13binary_searchIS3_SA_SG_SG_SI_NS1_21lower_bound_search_opENSC_16wrapped_functionINS0_4lessIvEEbEEEE10hipError_tPvRmT1_T2_T3_mmT4_T5_P12ihipStream_tbEUlRKS9_E_EESP_ST_SU_mSV_SY_bEUlT_E_NS1_11comp_targetILNS1_3genE9ELNS1_11target_archE1100ELNS1_3gpuE3ELNS1_3repE0EEENS1_30default_config_static_selectorELNS0_4arch9wavefront6targetE1EEEvSS_, .Lfunc_end146-_ZN7rocprim17ROCPRIM_400000_NS6detail17trampoline_kernelINS0_14default_configENS1_27lower_bound_config_selectorIN6thrust23THRUST_200600_302600_NS5tupleIffNS6_9null_typeES8_S8_S8_S8_S8_S8_S8_EEjEEZNS1_14transform_implILb0ES3_SA_NS6_6detail15normal_iteratorINS6_10device_ptrIS9_EEEENSD_INSE_IjEEEEZNS1_13binary_searchIS3_SA_SG_SG_SI_NS1_21lower_bound_search_opENSC_16wrapped_functionINS0_4lessIvEEbEEEE10hipError_tPvRmT1_T2_T3_mmT4_T5_P12ihipStream_tbEUlRKS9_E_EESP_ST_SU_mSV_SY_bEUlT_E_NS1_11comp_targetILNS1_3genE9ELNS1_11target_archE1100ELNS1_3gpuE3ELNS1_3repE0EEENS1_30default_config_static_selectorELNS0_4arch9wavefront6targetE1EEEvSS_
                                        ; -- End function
	.section	.AMDGPU.csdata,"",@progbits
; Kernel info:
; codeLenInByte = 0
; NumSgprs: 6
; NumVgprs: 0
; NumAgprs: 0
; TotalNumVgprs: 0
; ScratchSize: 0
; MemoryBound: 0
; FloatMode: 240
; IeeeMode: 1
; LDSByteSize: 0 bytes/workgroup (compile time only)
; SGPRBlocks: 0
; VGPRBlocks: 0
; NumSGPRsForWavesPerEU: 6
; NumVGPRsForWavesPerEU: 1
; AccumOffset: 4
; Occupancy: 8
; WaveLimiterHint : 0
; COMPUTE_PGM_RSRC2:SCRATCH_EN: 0
; COMPUTE_PGM_RSRC2:USER_SGPR: 2
; COMPUTE_PGM_RSRC2:TRAP_HANDLER: 0
; COMPUTE_PGM_RSRC2:TGID_X_EN: 1
; COMPUTE_PGM_RSRC2:TGID_Y_EN: 0
; COMPUTE_PGM_RSRC2:TGID_Z_EN: 0
; COMPUTE_PGM_RSRC2:TIDIG_COMP_CNT: 0
; COMPUTE_PGM_RSRC3_GFX90A:ACCUM_OFFSET: 0
; COMPUTE_PGM_RSRC3_GFX90A:TG_SPLIT: 0
	.section	.text._ZN7rocprim17ROCPRIM_400000_NS6detail17trampoline_kernelINS0_14default_configENS1_27lower_bound_config_selectorIN6thrust23THRUST_200600_302600_NS5tupleIffNS6_9null_typeES8_S8_S8_S8_S8_S8_S8_EEjEEZNS1_14transform_implILb0ES3_SA_NS6_6detail15normal_iteratorINS6_10device_ptrIS9_EEEENSD_INSE_IjEEEEZNS1_13binary_searchIS3_SA_SG_SG_SI_NS1_21lower_bound_search_opENSC_16wrapped_functionINS0_4lessIvEEbEEEE10hipError_tPvRmT1_T2_T3_mmT4_T5_P12ihipStream_tbEUlRKS9_E_EESP_ST_SU_mSV_SY_bEUlT_E_NS1_11comp_targetILNS1_3genE8ELNS1_11target_archE1030ELNS1_3gpuE2ELNS1_3repE0EEENS1_30default_config_static_selectorELNS0_4arch9wavefront6targetE1EEEvSS_,"axG",@progbits,_ZN7rocprim17ROCPRIM_400000_NS6detail17trampoline_kernelINS0_14default_configENS1_27lower_bound_config_selectorIN6thrust23THRUST_200600_302600_NS5tupleIffNS6_9null_typeES8_S8_S8_S8_S8_S8_S8_EEjEEZNS1_14transform_implILb0ES3_SA_NS6_6detail15normal_iteratorINS6_10device_ptrIS9_EEEENSD_INSE_IjEEEEZNS1_13binary_searchIS3_SA_SG_SG_SI_NS1_21lower_bound_search_opENSC_16wrapped_functionINS0_4lessIvEEbEEEE10hipError_tPvRmT1_T2_T3_mmT4_T5_P12ihipStream_tbEUlRKS9_E_EESP_ST_SU_mSV_SY_bEUlT_E_NS1_11comp_targetILNS1_3genE8ELNS1_11target_archE1030ELNS1_3gpuE2ELNS1_3repE0EEENS1_30default_config_static_selectorELNS0_4arch9wavefront6targetE1EEEvSS_,comdat
	.protected	_ZN7rocprim17ROCPRIM_400000_NS6detail17trampoline_kernelINS0_14default_configENS1_27lower_bound_config_selectorIN6thrust23THRUST_200600_302600_NS5tupleIffNS6_9null_typeES8_S8_S8_S8_S8_S8_S8_EEjEEZNS1_14transform_implILb0ES3_SA_NS6_6detail15normal_iteratorINS6_10device_ptrIS9_EEEENSD_INSE_IjEEEEZNS1_13binary_searchIS3_SA_SG_SG_SI_NS1_21lower_bound_search_opENSC_16wrapped_functionINS0_4lessIvEEbEEEE10hipError_tPvRmT1_T2_T3_mmT4_T5_P12ihipStream_tbEUlRKS9_E_EESP_ST_SU_mSV_SY_bEUlT_E_NS1_11comp_targetILNS1_3genE8ELNS1_11target_archE1030ELNS1_3gpuE2ELNS1_3repE0EEENS1_30default_config_static_selectorELNS0_4arch9wavefront6targetE1EEEvSS_ ; -- Begin function _ZN7rocprim17ROCPRIM_400000_NS6detail17trampoline_kernelINS0_14default_configENS1_27lower_bound_config_selectorIN6thrust23THRUST_200600_302600_NS5tupleIffNS6_9null_typeES8_S8_S8_S8_S8_S8_S8_EEjEEZNS1_14transform_implILb0ES3_SA_NS6_6detail15normal_iteratorINS6_10device_ptrIS9_EEEENSD_INSE_IjEEEEZNS1_13binary_searchIS3_SA_SG_SG_SI_NS1_21lower_bound_search_opENSC_16wrapped_functionINS0_4lessIvEEbEEEE10hipError_tPvRmT1_T2_T3_mmT4_T5_P12ihipStream_tbEUlRKS9_E_EESP_ST_SU_mSV_SY_bEUlT_E_NS1_11comp_targetILNS1_3genE8ELNS1_11target_archE1030ELNS1_3gpuE2ELNS1_3repE0EEENS1_30default_config_static_selectorELNS0_4arch9wavefront6targetE1EEEvSS_
	.globl	_ZN7rocprim17ROCPRIM_400000_NS6detail17trampoline_kernelINS0_14default_configENS1_27lower_bound_config_selectorIN6thrust23THRUST_200600_302600_NS5tupleIffNS6_9null_typeES8_S8_S8_S8_S8_S8_S8_EEjEEZNS1_14transform_implILb0ES3_SA_NS6_6detail15normal_iteratorINS6_10device_ptrIS9_EEEENSD_INSE_IjEEEEZNS1_13binary_searchIS3_SA_SG_SG_SI_NS1_21lower_bound_search_opENSC_16wrapped_functionINS0_4lessIvEEbEEEE10hipError_tPvRmT1_T2_T3_mmT4_T5_P12ihipStream_tbEUlRKS9_E_EESP_ST_SU_mSV_SY_bEUlT_E_NS1_11comp_targetILNS1_3genE8ELNS1_11target_archE1030ELNS1_3gpuE2ELNS1_3repE0EEENS1_30default_config_static_selectorELNS0_4arch9wavefront6targetE1EEEvSS_
	.p2align	8
	.type	_ZN7rocprim17ROCPRIM_400000_NS6detail17trampoline_kernelINS0_14default_configENS1_27lower_bound_config_selectorIN6thrust23THRUST_200600_302600_NS5tupleIffNS6_9null_typeES8_S8_S8_S8_S8_S8_S8_EEjEEZNS1_14transform_implILb0ES3_SA_NS6_6detail15normal_iteratorINS6_10device_ptrIS9_EEEENSD_INSE_IjEEEEZNS1_13binary_searchIS3_SA_SG_SG_SI_NS1_21lower_bound_search_opENSC_16wrapped_functionINS0_4lessIvEEbEEEE10hipError_tPvRmT1_T2_T3_mmT4_T5_P12ihipStream_tbEUlRKS9_E_EESP_ST_SU_mSV_SY_bEUlT_E_NS1_11comp_targetILNS1_3genE8ELNS1_11target_archE1030ELNS1_3gpuE2ELNS1_3repE0EEENS1_30default_config_static_selectorELNS0_4arch9wavefront6targetE1EEEvSS_,@function
_ZN7rocprim17ROCPRIM_400000_NS6detail17trampoline_kernelINS0_14default_configENS1_27lower_bound_config_selectorIN6thrust23THRUST_200600_302600_NS5tupleIffNS6_9null_typeES8_S8_S8_S8_S8_S8_S8_EEjEEZNS1_14transform_implILb0ES3_SA_NS6_6detail15normal_iteratorINS6_10device_ptrIS9_EEEENSD_INSE_IjEEEEZNS1_13binary_searchIS3_SA_SG_SG_SI_NS1_21lower_bound_search_opENSC_16wrapped_functionINS0_4lessIvEEbEEEE10hipError_tPvRmT1_T2_T3_mmT4_T5_P12ihipStream_tbEUlRKS9_E_EESP_ST_SU_mSV_SY_bEUlT_E_NS1_11comp_targetILNS1_3genE8ELNS1_11target_archE1030ELNS1_3gpuE2ELNS1_3repE0EEENS1_30default_config_static_selectorELNS0_4arch9wavefront6targetE1EEEvSS_: ; @_ZN7rocprim17ROCPRIM_400000_NS6detail17trampoline_kernelINS0_14default_configENS1_27lower_bound_config_selectorIN6thrust23THRUST_200600_302600_NS5tupleIffNS6_9null_typeES8_S8_S8_S8_S8_S8_S8_EEjEEZNS1_14transform_implILb0ES3_SA_NS6_6detail15normal_iteratorINS6_10device_ptrIS9_EEEENSD_INSE_IjEEEEZNS1_13binary_searchIS3_SA_SG_SG_SI_NS1_21lower_bound_search_opENSC_16wrapped_functionINS0_4lessIvEEbEEEE10hipError_tPvRmT1_T2_T3_mmT4_T5_P12ihipStream_tbEUlRKS9_E_EESP_ST_SU_mSV_SY_bEUlT_E_NS1_11comp_targetILNS1_3genE8ELNS1_11target_archE1030ELNS1_3gpuE2ELNS1_3repE0EEENS1_30default_config_static_selectorELNS0_4arch9wavefront6targetE1EEEvSS_
; %bb.0:
	.section	.rodata,"a",@progbits
	.p2align	6, 0x0
	.amdhsa_kernel _ZN7rocprim17ROCPRIM_400000_NS6detail17trampoline_kernelINS0_14default_configENS1_27lower_bound_config_selectorIN6thrust23THRUST_200600_302600_NS5tupleIffNS6_9null_typeES8_S8_S8_S8_S8_S8_S8_EEjEEZNS1_14transform_implILb0ES3_SA_NS6_6detail15normal_iteratorINS6_10device_ptrIS9_EEEENSD_INSE_IjEEEEZNS1_13binary_searchIS3_SA_SG_SG_SI_NS1_21lower_bound_search_opENSC_16wrapped_functionINS0_4lessIvEEbEEEE10hipError_tPvRmT1_T2_T3_mmT4_T5_P12ihipStream_tbEUlRKS9_E_EESP_ST_SU_mSV_SY_bEUlT_E_NS1_11comp_targetILNS1_3genE8ELNS1_11target_archE1030ELNS1_3gpuE2ELNS1_3repE0EEENS1_30default_config_static_selectorELNS0_4arch9wavefront6targetE1EEEvSS_
		.amdhsa_group_segment_fixed_size 0
		.amdhsa_private_segment_fixed_size 0
		.amdhsa_kernarg_size 56
		.amdhsa_user_sgpr_count 2
		.amdhsa_user_sgpr_dispatch_ptr 0
		.amdhsa_user_sgpr_queue_ptr 0
		.amdhsa_user_sgpr_kernarg_segment_ptr 1
		.amdhsa_user_sgpr_dispatch_id 0
		.amdhsa_user_sgpr_kernarg_preload_length 0
		.amdhsa_user_sgpr_kernarg_preload_offset 0
		.amdhsa_user_sgpr_private_segment_size 0
		.amdhsa_uses_dynamic_stack 0
		.amdhsa_enable_private_segment 0
		.amdhsa_system_sgpr_workgroup_id_x 1
		.amdhsa_system_sgpr_workgroup_id_y 0
		.amdhsa_system_sgpr_workgroup_id_z 0
		.amdhsa_system_sgpr_workgroup_info 0
		.amdhsa_system_vgpr_workitem_id 0
		.amdhsa_next_free_vgpr 1
		.amdhsa_next_free_sgpr 0
		.amdhsa_accum_offset 4
		.amdhsa_reserve_vcc 0
		.amdhsa_float_round_mode_32 0
		.amdhsa_float_round_mode_16_64 0
		.amdhsa_float_denorm_mode_32 3
		.amdhsa_float_denorm_mode_16_64 3
		.amdhsa_dx10_clamp 1
		.amdhsa_ieee_mode 1
		.amdhsa_fp16_overflow 0
		.amdhsa_tg_split 0
		.amdhsa_exception_fp_ieee_invalid_op 0
		.amdhsa_exception_fp_denorm_src 0
		.amdhsa_exception_fp_ieee_div_zero 0
		.amdhsa_exception_fp_ieee_overflow 0
		.amdhsa_exception_fp_ieee_underflow 0
		.amdhsa_exception_fp_ieee_inexact 0
		.amdhsa_exception_int_div_zero 0
	.end_amdhsa_kernel
	.section	.text._ZN7rocprim17ROCPRIM_400000_NS6detail17trampoline_kernelINS0_14default_configENS1_27lower_bound_config_selectorIN6thrust23THRUST_200600_302600_NS5tupleIffNS6_9null_typeES8_S8_S8_S8_S8_S8_S8_EEjEEZNS1_14transform_implILb0ES3_SA_NS6_6detail15normal_iteratorINS6_10device_ptrIS9_EEEENSD_INSE_IjEEEEZNS1_13binary_searchIS3_SA_SG_SG_SI_NS1_21lower_bound_search_opENSC_16wrapped_functionINS0_4lessIvEEbEEEE10hipError_tPvRmT1_T2_T3_mmT4_T5_P12ihipStream_tbEUlRKS9_E_EESP_ST_SU_mSV_SY_bEUlT_E_NS1_11comp_targetILNS1_3genE8ELNS1_11target_archE1030ELNS1_3gpuE2ELNS1_3repE0EEENS1_30default_config_static_selectorELNS0_4arch9wavefront6targetE1EEEvSS_,"axG",@progbits,_ZN7rocprim17ROCPRIM_400000_NS6detail17trampoline_kernelINS0_14default_configENS1_27lower_bound_config_selectorIN6thrust23THRUST_200600_302600_NS5tupleIffNS6_9null_typeES8_S8_S8_S8_S8_S8_S8_EEjEEZNS1_14transform_implILb0ES3_SA_NS6_6detail15normal_iteratorINS6_10device_ptrIS9_EEEENSD_INSE_IjEEEEZNS1_13binary_searchIS3_SA_SG_SG_SI_NS1_21lower_bound_search_opENSC_16wrapped_functionINS0_4lessIvEEbEEEE10hipError_tPvRmT1_T2_T3_mmT4_T5_P12ihipStream_tbEUlRKS9_E_EESP_ST_SU_mSV_SY_bEUlT_E_NS1_11comp_targetILNS1_3genE8ELNS1_11target_archE1030ELNS1_3gpuE2ELNS1_3repE0EEENS1_30default_config_static_selectorELNS0_4arch9wavefront6targetE1EEEvSS_,comdat
.Lfunc_end147:
	.size	_ZN7rocprim17ROCPRIM_400000_NS6detail17trampoline_kernelINS0_14default_configENS1_27lower_bound_config_selectorIN6thrust23THRUST_200600_302600_NS5tupleIffNS6_9null_typeES8_S8_S8_S8_S8_S8_S8_EEjEEZNS1_14transform_implILb0ES3_SA_NS6_6detail15normal_iteratorINS6_10device_ptrIS9_EEEENSD_INSE_IjEEEEZNS1_13binary_searchIS3_SA_SG_SG_SI_NS1_21lower_bound_search_opENSC_16wrapped_functionINS0_4lessIvEEbEEEE10hipError_tPvRmT1_T2_T3_mmT4_T5_P12ihipStream_tbEUlRKS9_E_EESP_ST_SU_mSV_SY_bEUlT_E_NS1_11comp_targetILNS1_3genE8ELNS1_11target_archE1030ELNS1_3gpuE2ELNS1_3repE0EEENS1_30default_config_static_selectorELNS0_4arch9wavefront6targetE1EEEvSS_, .Lfunc_end147-_ZN7rocprim17ROCPRIM_400000_NS6detail17trampoline_kernelINS0_14default_configENS1_27lower_bound_config_selectorIN6thrust23THRUST_200600_302600_NS5tupleIffNS6_9null_typeES8_S8_S8_S8_S8_S8_S8_EEjEEZNS1_14transform_implILb0ES3_SA_NS6_6detail15normal_iteratorINS6_10device_ptrIS9_EEEENSD_INSE_IjEEEEZNS1_13binary_searchIS3_SA_SG_SG_SI_NS1_21lower_bound_search_opENSC_16wrapped_functionINS0_4lessIvEEbEEEE10hipError_tPvRmT1_T2_T3_mmT4_T5_P12ihipStream_tbEUlRKS9_E_EESP_ST_SU_mSV_SY_bEUlT_E_NS1_11comp_targetILNS1_3genE8ELNS1_11target_archE1030ELNS1_3gpuE2ELNS1_3repE0EEENS1_30default_config_static_selectorELNS0_4arch9wavefront6targetE1EEEvSS_
                                        ; -- End function
	.section	.AMDGPU.csdata,"",@progbits
; Kernel info:
; codeLenInByte = 0
; NumSgprs: 6
; NumVgprs: 0
; NumAgprs: 0
; TotalNumVgprs: 0
; ScratchSize: 0
; MemoryBound: 0
; FloatMode: 240
; IeeeMode: 1
; LDSByteSize: 0 bytes/workgroup (compile time only)
; SGPRBlocks: 0
; VGPRBlocks: 0
; NumSGPRsForWavesPerEU: 6
; NumVGPRsForWavesPerEU: 1
; AccumOffset: 4
; Occupancy: 8
; WaveLimiterHint : 0
; COMPUTE_PGM_RSRC2:SCRATCH_EN: 0
; COMPUTE_PGM_RSRC2:USER_SGPR: 2
; COMPUTE_PGM_RSRC2:TRAP_HANDLER: 0
; COMPUTE_PGM_RSRC2:TGID_X_EN: 1
; COMPUTE_PGM_RSRC2:TGID_Y_EN: 0
; COMPUTE_PGM_RSRC2:TGID_Z_EN: 0
; COMPUTE_PGM_RSRC2:TIDIG_COMP_CNT: 0
; COMPUTE_PGM_RSRC3_GFX90A:ACCUM_OFFSET: 0
; COMPUTE_PGM_RSRC3_GFX90A:TG_SPLIT: 0
	.section	.text._ZN6thrust23THRUST_200600_302600_NS11hip_rocprim14__parallel_for6kernelILj256ENS1_20__uninitialized_copy7functorINS0_10device_ptrINS0_5tupleIffNS0_9null_typeES8_S8_S8_S8_S8_S8_S8_EEEENS0_7pointerIS9_NS1_3tagENS0_11use_defaultESD_EEEEmLj1EEEvT0_T1_SH_,"axG",@progbits,_ZN6thrust23THRUST_200600_302600_NS11hip_rocprim14__parallel_for6kernelILj256ENS1_20__uninitialized_copy7functorINS0_10device_ptrINS0_5tupleIffNS0_9null_typeES8_S8_S8_S8_S8_S8_S8_EEEENS0_7pointerIS9_NS1_3tagENS0_11use_defaultESD_EEEEmLj1EEEvT0_T1_SH_,comdat
	.protected	_ZN6thrust23THRUST_200600_302600_NS11hip_rocprim14__parallel_for6kernelILj256ENS1_20__uninitialized_copy7functorINS0_10device_ptrINS0_5tupleIffNS0_9null_typeES8_S8_S8_S8_S8_S8_S8_EEEENS0_7pointerIS9_NS1_3tagENS0_11use_defaultESD_EEEEmLj1EEEvT0_T1_SH_ ; -- Begin function _ZN6thrust23THRUST_200600_302600_NS11hip_rocprim14__parallel_for6kernelILj256ENS1_20__uninitialized_copy7functorINS0_10device_ptrINS0_5tupleIffNS0_9null_typeES8_S8_S8_S8_S8_S8_S8_EEEENS0_7pointerIS9_NS1_3tagENS0_11use_defaultESD_EEEEmLj1EEEvT0_T1_SH_
	.globl	_ZN6thrust23THRUST_200600_302600_NS11hip_rocprim14__parallel_for6kernelILj256ENS1_20__uninitialized_copy7functorINS0_10device_ptrINS0_5tupleIffNS0_9null_typeES8_S8_S8_S8_S8_S8_S8_EEEENS0_7pointerIS9_NS1_3tagENS0_11use_defaultESD_EEEEmLj1EEEvT0_T1_SH_
	.p2align	8
	.type	_ZN6thrust23THRUST_200600_302600_NS11hip_rocprim14__parallel_for6kernelILj256ENS1_20__uninitialized_copy7functorINS0_10device_ptrINS0_5tupleIffNS0_9null_typeES8_S8_S8_S8_S8_S8_S8_EEEENS0_7pointerIS9_NS1_3tagENS0_11use_defaultESD_EEEEmLj1EEEvT0_T1_SH_,@function
_ZN6thrust23THRUST_200600_302600_NS11hip_rocprim14__parallel_for6kernelILj256ENS1_20__uninitialized_copy7functorINS0_10device_ptrINS0_5tupleIffNS0_9null_typeES8_S8_S8_S8_S8_S8_S8_EEEENS0_7pointerIS9_NS1_3tagENS0_11use_defaultESD_EEEEmLj1EEEvT0_T1_SH_: ; @_ZN6thrust23THRUST_200600_302600_NS11hip_rocprim14__parallel_for6kernelILj256ENS1_20__uninitialized_copy7functorINS0_10device_ptrINS0_5tupleIffNS0_9null_typeES8_S8_S8_S8_S8_S8_S8_EEEENS0_7pointerIS9_NS1_3tagENS0_11use_defaultESD_EEEEmLj1EEEvT0_T1_SH_
; %bb.0:
	s_load_dwordx8 s[4:11], s[0:1], 0x0
	s_lshl_b32 s0, s2, 8
	v_mov_b64_e32 v[2:3], 0x100
	s_waitcnt lgkmcnt(0)
	s_add_u32 s0, s0, s10
	s_addc_u32 s1, 0, s11
	s_sub_u32 s2, s8, s0
	s_subb_u32 s3, s9, s1
	v_cmp_lt_u64_e32 vcc, s[2:3], v[2:3]
	s_cbranch_vccz .LBB148_4
; %bb.1:
	v_cmp_gt_u32_e32 vcc, s2, v0
	s_mov_b64 s[8:9], 0
	s_mov_b64 s[2:3], 0
                                        ; implicit-def: $vgpr2_vgpr3
                                        ; implicit-def: $vgpr4_vgpr5
	s_and_saveexec_b64 s[10:11], vcc
	s_xor_b64 s[10:11], exec, s[10:11]
; %bb.2:
	v_mov_b32_e32 v1, 0
	v_lshl_add_u64 v[2:3], s[0:1], 0, v[0:1]
	v_lshlrev_b64 v[4:5], 3, v[2:3]
	s_mov_b64 s[2:3], exec
	v_lshl_add_u64 v[2:3], s[6:7], 0, v[4:5]
	v_lshl_add_u64 v[4:5], s[4:5], 0, v[4:5]
; %bb.3:
	s_or_b64 exec, exec, s[10:11]
	s_and_b64 vcc, exec, s[8:9]
	s_cbranch_vccnz .LBB148_5
	s_branch .LBB148_6
.LBB148_4:
	s_mov_b64 s[2:3], 0
                                        ; implicit-def: $vgpr2_vgpr3
                                        ; implicit-def: $vgpr4_vgpr5
	s_cbranch_execz .LBB148_6
.LBB148_5:
	v_mov_b32_e32 v1, 0
	v_lshl_add_u64 v[0:1], s[0:1], 0, v[0:1]
	v_lshlrev_b64 v[0:1], 3, v[0:1]
	v_lshl_add_u64 v[4:5], s[4:5], 0, v[0:1]
	v_lshl_add_u64 v[2:3], s[6:7], 0, v[0:1]
	s_or_b64 s[2:3], s[2:3], exec
.LBB148_6:
	s_and_saveexec_b64 s[0:1], s[2:3]
	s_cbranch_execnz .LBB148_8
; %bb.7:
	s_endpgm
.LBB148_8:
	flat_load_dwordx2 v[0:1], v[4:5]
	s_waitcnt vmcnt(0) lgkmcnt(0)
	flat_store_dwordx2 v[2:3], v[0:1]
	s_endpgm
	.section	.rodata,"a",@progbits
	.p2align	6, 0x0
	.amdhsa_kernel _ZN6thrust23THRUST_200600_302600_NS11hip_rocprim14__parallel_for6kernelILj256ENS1_20__uninitialized_copy7functorINS0_10device_ptrINS0_5tupleIffNS0_9null_typeES8_S8_S8_S8_S8_S8_S8_EEEENS0_7pointerIS9_NS1_3tagENS0_11use_defaultESD_EEEEmLj1EEEvT0_T1_SH_
		.amdhsa_group_segment_fixed_size 0
		.amdhsa_private_segment_fixed_size 0
		.amdhsa_kernarg_size 32
		.amdhsa_user_sgpr_count 2
		.amdhsa_user_sgpr_dispatch_ptr 0
		.amdhsa_user_sgpr_queue_ptr 0
		.amdhsa_user_sgpr_kernarg_segment_ptr 1
		.amdhsa_user_sgpr_dispatch_id 0
		.amdhsa_user_sgpr_kernarg_preload_length 0
		.amdhsa_user_sgpr_kernarg_preload_offset 0
		.amdhsa_user_sgpr_private_segment_size 0
		.amdhsa_uses_dynamic_stack 0
		.amdhsa_enable_private_segment 0
		.amdhsa_system_sgpr_workgroup_id_x 1
		.amdhsa_system_sgpr_workgroup_id_y 0
		.amdhsa_system_sgpr_workgroup_id_z 0
		.amdhsa_system_sgpr_workgroup_info 0
		.amdhsa_system_vgpr_workitem_id 0
		.amdhsa_next_free_vgpr 6
		.amdhsa_next_free_sgpr 12
		.amdhsa_accum_offset 8
		.amdhsa_reserve_vcc 1
		.amdhsa_float_round_mode_32 0
		.amdhsa_float_round_mode_16_64 0
		.amdhsa_float_denorm_mode_32 3
		.amdhsa_float_denorm_mode_16_64 3
		.amdhsa_dx10_clamp 1
		.amdhsa_ieee_mode 1
		.amdhsa_fp16_overflow 0
		.amdhsa_tg_split 0
		.amdhsa_exception_fp_ieee_invalid_op 0
		.amdhsa_exception_fp_denorm_src 0
		.amdhsa_exception_fp_ieee_div_zero 0
		.amdhsa_exception_fp_ieee_overflow 0
		.amdhsa_exception_fp_ieee_underflow 0
		.amdhsa_exception_fp_ieee_inexact 0
		.amdhsa_exception_int_div_zero 0
	.end_amdhsa_kernel
	.section	.text._ZN6thrust23THRUST_200600_302600_NS11hip_rocprim14__parallel_for6kernelILj256ENS1_20__uninitialized_copy7functorINS0_10device_ptrINS0_5tupleIffNS0_9null_typeES8_S8_S8_S8_S8_S8_S8_EEEENS0_7pointerIS9_NS1_3tagENS0_11use_defaultESD_EEEEmLj1EEEvT0_T1_SH_,"axG",@progbits,_ZN6thrust23THRUST_200600_302600_NS11hip_rocprim14__parallel_for6kernelILj256ENS1_20__uninitialized_copy7functorINS0_10device_ptrINS0_5tupleIffNS0_9null_typeES8_S8_S8_S8_S8_S8_S8_EEEENS0_7pointerIS9_NS1_3tagENS0_11use_defaultESD_EEEEmLj1EEEvT0_T1_SH_,comdat
.Lfunc_end148:
	.size	_ZN6thrust23THRUST_200600_302600_NS11hip_rocprim14__parallel_for6kernelILj256ENS1_20__uninitialized_copy7functorINS0_10device_ptrINS0_5tupleIffNS0_9null_typeES8_S8_S8_S8_S8_S8_S8_EEEENS0_7pointerIS9_NS1_3tagENS0_11use_defaultESD_EEEEmLj1EEEvT0_T1_SH_, .Lfunc_end148-_ZN6thrust23THRUST_200600_302600_NS11hip_rocprim14__parallel_for6kernelILj256ENS1_20__uninitialized_copy7functorINS0_10device_ptrINS0_5tupleIffNS0_9null_typeES8_S8_S8_S8_S8_S8_S8_EEEENS0_7pointerIS9_NS1_3tagENS0_11use_defaultESD_EEEEmLj1EEEvT0_T1_SH_
                                        ; -- End function
	.section	.AMDGPU.csdata,"",@progbits
; Kernel info:
; codeLenInByte = 208
; NumSgprs: 18
; NumVgprs: 6
; NumAgprs: 0
; TotalNumVgprs: 6
; ScratchSize: 0
; MemoryBound: 1
; FloatMode: 240
; IeeeMode: 1
; LDSByteSize: 0 bytes/workgroup (compile time only)
; SGPRBlocks: 2
; VGPRBlocks: 0
; NumSGPRsForWavesPerEU: 18
; NumVGPRsForWavesPerEU: 6
; AccumOffset: 8
; Occupancy: 8
; WaveLimiterHint : 0
; COMPUTE_PGM_RSRC2:SCRATCH_EN: 0
; COMPUTE_PGM_RSRC2:USER_SGPR: 2
; COMPUTE_PGM_RSRC2:TRAP_HANDLER: 0
; COMPUTE_PGM_RSRC2:TGID_X_EN: 1
; COMPUTE_PGM_RSRC2:TGID_Y_EN: 0
; COMPUTE_PGM_RSRC2:TGID_Z_EN: 0
; COMPUTE_PGM_RSRC2:TIDIG_COMP_CNT: 0
; COMPUTE_PGM_RSRC3_GFX90A:ACCUM_OFFSET: 1
; COMPUTE_PGM_RSRC3_GFX90A:TG_SPLIT: 0
	.text
	.p2alignl 6, 3212836864
	.fill 256, 4, 3212836864
	.type	__hip_cuid_cf78a9b692115381,@object ; @__hip_cuid_cf78a9b692115381
	.section	.bss,"aw",@nobits
	.globl	__hip_cuid_cf78a9b692115381
__hip_cuid_cf78a9b692115381:
	.byte	0                               ; 0x0
	.size	__hip_cuid_cf78a9b692115381, 1

	.ident	"AMD clang version 19.0.0git (https://github.com/RadeonOpenCompute/llvm-project roc-6.4.0 25133 c7fe45cf4b819c5991fe208aaa96edf142730f1d)"
	.section	".note.GNU-stack","",@progbits
	.addrsig
	.addrsig_sym __hip_cuid_cf78a9b692115381
	.amdgpu_metadata
---
amdhsa.kernels:
  - .agpr_count:     0
    .args:
      - .offset:         0
        .size:           16
        .value_kind:     by_value
      - .offset:         16
        .size:           8
        .value_kind:     by_value
      - .offset:         24
        .size:           8
        .value_kind:     by_value
    .group_segment_fixed_size: 0
    .kernarg_segment_align: 8
    .kernarg_segment_size: 32
    .language:       OpenCL C
    .language_version:
      - 2
      - 0
    .max_flat_workgroup_size: 256
    .name:           _ZN6thrust23THRUST_200600_302600_NS11hip_rocprim14__parallel_for6kernelILj256ENS1_10for_each_fINS0_10device_ptrINS0_5tupleIffNS0_9null_typeES7_S7_S7_S7_S7_S7_S7_EEEENS0_6detail16wrapped_functionINSA_23allocator_traits_detail24construct1_via_allocatorINS0_16device_allocatorIS8_EEEEvEEEEmLj1EEEvT0_T1_SK_
    .private_segment_fixed_size: 0
    .sgpr_count:     18
    .sgpr_spill_count: 0
    .symbol:         _ZN6thrust23THRUST_200600_302600_NS11hip_rocprim14__parallel_for6kernelILj256ENS1_10for_each_fINS0_10device_ptrINS0_5tupleIffNS0_9null_typeES7_S7_S7_S7_S7_S7_S7_EEEENS0_6detail16wrapped_functionINSA_23allocator_traits_detail24construct1_via_allocatorINS0_16device_allocatorIS8_EEEEvEEEEmLj1EEEvT0_T1_SK_.kd
    .uniform_work_group_size: 1
    .uses_dynamic_stack: false
    .vgpr_count:     4
    .vgpr_spill_count: 0
    .wavefront_size: 64
  - .agpr_count:     0
    .args:
      - .offset:         0
        .size:           16
        .value_kind:     by_value
      - .offset:         16
        .size:           8
        .value_kind:     by_value
      - .offset:         24
        .size:           8
        .value_kind:     by_value
    .group_segment_fixed_size: 0
    .kernarg_segment_align: 8
    .kernarg_segment_size: 32
    .language:       OpenCL C
    .language_version:
      - 2
      - 0
    .max_flat_workgroup_size: 256
    .name:           _ZN6thrust23THRUST_200600_302600_NS11hip_rocprim14__parallel_for6kernelILj256ENS1_10for_each_fINS0_10device_ptrINS0_5tupleIffNS0_9null_typeES7_S7_S7_S7_S7_S7_S7_EEEENS0_6detail16wrapped_functionINSA_23allocator_traits_detail5gozerEvEEEElLj1EEEvT0_T1_SH_
    .private_segment_fixed_size: 0
    .sgpr_count:     6
    .sgpr_spill_count: 0
    .symbol:         _ZN6thrust23THRUST_200600_302600_NS11hip_rocprim14__parallel_for6kernelILj256ENS1_10for_each_fINS0_10device_ptrINS0_5tupleIffNS0_9null_typeES7_S7_S7_S7_S7_S7_S7_EEEENS0_6detail16wrapped_functionINSA_23allocator_traits_detail5gozerEvEEEElLj1EEEvT0_T1_SH_.kd
    .uniform_work_group_size: 1
    .uses_dynamic_stack: false
    .vgpr_count:     0
    .vgpr_spill_count: 0
    .wavefront_size: 64
  - .agpr_count:     0
    .args:
      - .offset:         0
        .size:           16
        .value_kind:     by_value
      - .offset:         16
        .size:           8
        .value_kind:     by_value
      - .offset:         24
        .size:           8
        .value_kind:     by_value
    .group_segment_fixed_size: 0
    .kernarg_segment_align: 8
    .kernarg_segment_size: 32
    .language:       OpenCL C
    .language_version:
      - 2
      - 0
    .max_flat_workgroup_size: 256
    .name:           _ZN6thrust23THRUST_200600_302600_NS11hip_rocprim14__parallel_for6kernelILj256ENS1_10for_each_fINS0_7pointerINS0_5tupleIffNS0_9null_typeES7_S7_S7_S7_S7_S7_S7_EENS1_3tagENS0_11use_defaultESA_EENS0_6detail16wrapped_functionINSC_23allocator_traits_detail24construct1_via_allocatorINSC_18no_throw_allocatorINSC_19temporary_allocatorIS8_S9_EEEEEEvEEEEmLj1EEEvT0_T1_SO_
    .private_segment_fixed_size: 0
    .sgpr_count:     18
    .sgpr_spill_count: 0
    .symbol:         _ZN6thrust23THRUST_200600_302600_NS11hip_rocprim14__parallel_for6kernelILj256ENS1_10for_each_fINS0_7pointerINS0_5tupleIffNS0_9null_typeES7_S7_S7_S7_S7_S7_S7_EENS1_3tagENS0_11use_defaultESA_EENS0_6detail16wrapped_functionINSC_23allocator_traits_detail24construct1_via_allocatorINSC_18no_throw_allocatorINSC_19temporary_allocatorIS8_S9_EEEEEEvEEEEmLj1EEEvT0_T1_SO_.kd
    .uniform_work_group_size: 1
    .uses_dynamic_stack: false
    .vgpr_count:     4
    .vgpr_spill_count: 0
    .wavefront_size: 64
  - .agpr_count:     0
    .args:
      - .offset:         0
        .size:           16
        .value_kind:     by_value
      - .offset:         16
        .size:           8
        .value_kind:     by_value
      - .offset:         24
        .size:           8
        .value_kind:     by_value
    .group_segment_fixed_size: 0
    .kernarg_segment_align: 8
    .kernarg_segment_size: 32
    .language:       OpenCL C
    .language_version:
      - 2
      - 0
    .max_flat_workgroup_size: 256
    .name:           _ZN6thrust23THRUST_200600_302600_NS11hip_rocprim14__parallel_for6kernelILj256ENS1_10for_each_fINS0_7pointerINS0_5tupleIffNS0_9null_typeES7_S7_S7_S7_S7_S7_S7_EENS1_3tagENS0_11use_defaultESA_EENS0_6detail16wrapped_functionINSC_23allocator_traits_detail5gozerEvEEEElLj1EEEvT0_T1_SJ_
    .private_segment_fixed_size: 0
    .sgpr_count:     6
    .sgpr_spill_count: 0
    .symbol:         _ZN6thrust23THRUST_200600_302600_NS11hip_rocprim14__parallel_for6kernelILj256ENS1_10for_each_fINS0_7pointerINS0_5tupleIffNS0_9null_typeES7_S7_S7_S7_S7_S7_S7_EENS1_3tagENS0_11use_defaultESA_EENS0_6detail16wrapped_functionINSC_23allocator_traits_detail5gozerEvEEEElLj1EEEvT0_T1_SJ_.kd
    .uniform_work_group_size: 1
    .uses_dynamic_stack: false
    .vgpr_count:     0
    .vgpr_spill_count: 0
    .wavefront_size: 64
  - .agpr_count:     0
    .args:
      - .offset:         0
        .size:           24
        .value_kind:     by_value
      - .offset:         24
        .size:           8
        .value_kind:     by_value
      - .offset:         32
        .size:           8
        .value_kind:     by_value
    .group_segment_fixed_size: 0
    .kernarg_segment_align: 8
    .kernarg_segment_size: 40
    .language:       OpenCL C
    .language_version:
      - 2
      - 0
    .max_flat_workgroup_size: 256
    .name:           _ZN6thrust23THRUST_200600_302600_NS11hip_rocprim14__parallel_for6kernelILj256ENS1_11__transform17unary_transform_fINS0_7pointerINS0_5tupleIffNS0_9null_typeES8_S8_S8_S8_S8_S8_S8_EENS1_3tagENS0_11use_defaultESB_EENS0_10device_ptrIS9_EENS4_14no_stencil_tagENS0_8identityIS9_EENS4_21always_true_predicateEEElLj1EEEvT0_T1_SL_
    .private_segment_fixed_size: 0
    .sgpr_count:     18
    .sgpr_spill_count: 0
    .symbol:         _ZN6thrust23THRUST_200600_302600_NS11hip_rocprim14__parallel_for6kernelILj256ENS1_11__transform17unary_transform_fINS0_7pointerINS0_5tupleIffNS0_9null_typeES8_S8_S8_S8_S8_S8_S8_EENS1_3tagENS0_11use_defaultESB_EENS0_10device_ptrIS9_EENS4_14no_stencil_tagENS0_8identityIS9_EENS4_21always_true_predicateEEElLj1EEEvT0_T1_SL_.kd
    .uniform_work_group_size: 1
    .uses_dynamic_stack: false
    .vgpr_count:     6
    .vgpr_spill_count: 0
    .wavefront_size: 64
  - .agpr_count:     0
    .args:
      - .offset:         0
        .size:           16
        .value_kind:     by_value
      - .offset:         16
        .size:           8
        .value_kind:     by_value
      - .offset:         24
        .size:           8
        .value_kind:     by_value
    .group_segment_fixed_size: 0
    .kernarg_segment_align: 8
    .kernarg_segment_size: 32
    .language:       OpenCL C
    .language_version:
      - 2
      - 0
    .max_flat_workgroup_size: 256
    .name:           _ZN6thrust23THRUST_200600_302600_NS11hip_rocprim14__parallel_for6kernelILj256ENS1_20__uninitialized_copy7functorINS0_7pointerINS0_5tupleIffNS0_9null_typeES8_S8_S8_S8_S8_S8_S8_EENS1_3tagENS0_11use_defaultESB_EESC_EEmLj1EEEvT0_T1_SF_
    .private_segment_fixed_size: 0
    .sgpr_count:     18
    .sgpr_spill_count: 0
    .symbol:         _ZN6thrust23THRUST_200600_302600_NS11hip_rocprim14__parallel_for6kernelILj256ENS1_20__uninitialized_copy7functorINS0_7pointerINS0_5tupleIffNS0_9null_typeES8_S8_S8_S8_S8_S8_S8_EENS1_3tagENS0_11use_defaultESB_EESC_EEmLj1EEEvT0_T1_SF_.kd
    .uniform_work_group_size: 1
    .uses_dynamic_stack: false
    .vgpr_count:     6
    .vgpr_spill_count: 0
    .wavefront_size: 64
  - .agpr_count:     0
    .args:
      - .offset:         0
        .size:           24
        .value_kind:     by_value
      - .offset:         24
        .size:           8
        .value_kind:     by_value
      - .offset:         32
        .size:           8
        .value_kind:     by_value
    .group_segment_fixed_size: 0
    .kernarg_segment_align: 8
    .kernarg_segment_size: 40
    .language:       OpenCL C
    .language_version:
      - 2
      - 0
    .max_flat_workgroup_size: 256
    .name:           _ZN6thrust23THRUST_200600_302600_NS11hip_rocprim14__parallel_for6kernelILj256ENS1_10for_each_fINS0_12zip_iteratorINS0_5tupleINS0_6detail15normal_iteratorINS0_10device_ptrIKNS6_IffNS0_9null_typeESA_SA_SA_SA_SA_SA_SA_EEEEEENS9_ISB_EESA_SA_SA_SA_SA_SA_SA_SA_EEEENS7_16wrapped_functionINS7_23allocator_traits_detail29copy_construct_with_allocatorINS0_16device_allocatorISB_EESB_SB_EEvEEEElLj1EEEvT0_T1_SR_
    .private_segment_fixed_size: 0
    .sgpr_count:     14
    .sgpr_spill_count: 0
    .symbol:         _ZN6thrust23THRUST_200600_302600_NS11hip_rocprim14__parallel_for6kernelILj256ENS1_10for_each_fINS0_12zip_iteratorINS0_5tupleINS0_6detail15normal_iteratorINS0_10device_ptrIKNS6_IffNS0_9null_typeESA_SA_SA_SA_SA_SA_SA_EEEEEENS9_ISB_EESA_SA_SA_SA_SA_SA_SA_SA_EEEENS7_16wrapped_functionINS7_23allocator_traits_detail29copy_construct_with_allocatorINS0_16device_allocatorISB_EESB_SB_EEvEEEElLj1EEEvT0_T1_SR_.kd
    .uniform_work_group_size: 1
    .uses_dynamic_stack: false
    .vgpr_count:     4
    .vgpr_spill_count: 0
    .wavefront_size: 64
  - .agpr_count:     0
    .args:
      - .offset:         0
        .size:           16
        .value_kind:     by_value
      - .offset:         16
        .size:           8
        .value_kind:     by_value
      - .offset:         24
        .size:           8
        .value_kind:     by_value
    .group_segment_fixed_size: 0
    .kernarg_segment_align: 8
    .kernarg_segment_size: 32
    .language:       OpenCL C
    .language_version:
      - 2
      - 0
    .max_flat_workgroup_size: 256
    .name:           _ZN6thrust23THRUST_200600_302600_NS11hip_rocprim14__parallel_for6kernelILj256ENS1_20__uninitialized_fill7functorINS0_10device_ptrIjEEjEEmLj1EEEvT0_T1_SA_
    .private_segment_fixed_size: 0
    .sgpr_count:     14
    .sgpr_spill_count: 0
    .symbol:         _ZN6thrust23THRUST_200600_302600_NS11hip_rocprim14__parallel_for6kernelILj256ENS1_20__uninitialized_fill7functorINS0_10device_ptrIjEEjEEmLj1EEEvT0_T1_SA_.kd
    .uniform_work_group_size: 1
    .uses_dynamic_stack: false
    .vgpr_count:     4
    .vgpr_spill_count: 0
    .wavefront_size: 64
  - .agpr_count:     0
    .args:           []
    .group_segment_fixed_size: 0
    .kernarg_segment_align: 4
    .kernarg_segment_size: 0
    .language:       OpenCL C
    .language_version:
      - 2
      - 0
    .max_flat_workgroup_size: 1024
    .name:           _ZN7rocprim17ROCPRIM_400000_NS6detail44device_merge_sort_compile_time_verifier_archINS1_11comp_targetILNS1_3genE0ELNS1_11target_archE4294967295ELNS1_3gpuE0ELNS1_3repE0EEES8_NS0_14default_configES9_NS1_37merge_sort_block_sort_config_selectorIN6thrust23THRUST_200600_302600_NS5tupleIffNSC_9null_typeESE_SE_SE_SE_SE_SE_SE_EENS0_10empty_typeEEENS1_38merge_sort_block_merge_config_selectorISF_SG_EEEEvv
    .private_segment_fixed_size: 0
    .sgpr_count:     6
    .sgpr_spill_count: 0
    .symbol:         _ZN7rocprim17ROCPRIM_400000_NS6detail44device_merge_sort_compile_time_verifier_archINS1_11comp_targetILNS1_3genE0ELNS1_11target_archE4294967295ELNS1_3gpuE0ELNS1_3repE0EEES8_NS0_14default_configES9_NS1_37merge_sort_block_sort_config_selectorIN6thrust23THRUST_200600_302600_NS5tupleIffNSC_9null_typeESE_SE_SE_SE_SE_SE_SE_EENS0_10empty_typeEEENS1_38merge_sort_block_merge_config_selectorISF_SG_EEEEvv.kd
    .uniform_work_group_size: 1
    .uses_dynamic_stack: false
    .vgpr_count:     0
    .vgpr_spill_count: 0
    .wavefront_size: 64
  - .agpr_count:     0
    .args:           []
    .group_segment_fixed_size: 0
    .kernarg_segment_align: 4
    .kernarg_segment_size: 0
    .language:       OpenCL C
    .language_version:
      - 2
      - 0
    .max_flat_workgroup_size: 1024
    .name:           _ZN7rocprim17ROCPRIM_400000_NS6detail44device_merge_sort_compile_time_verifier_archINS1_11comp_targetILNS1_3genE5ELNS1_11target_archE942ELNS1_3gpuE9ELNS1_3repE0EEES8_NS0_14default_configES9_NS1_37merge_sort_block_sort_config_selectorIN6thrust23THRUST_200600_302600_NS5tupleIffNSC_9null_typeESE_SE_SE_SE_SE_SE_SE_EENS0_10empty_typeEEENS1_38merge_sort_block_merge_config_selectorISF_SG_EEEEvv
    .private_segment_fixed_size: 0
    .sgpr_count:     6
    .sgpr_spill_count: 0
    .symbol:         _ZN7rocprim17ROCPRIM_400000_NS6detail44device_merge_sort_compile_time_verifier_archINS1_11comp_targetILNS1_3genE5ELNS1_11target_archE942ELNS1_3gpuE9ELNS1_3repE0EEES8_NS0_14default_configES9_NS1_37merge_sort_block_sort_config_selectorIN6thrust23THRUST_200600_302600_NS5tupleIffNSC_9null_typeESE_SE_SE_SE_SE_SE_SE_EENS0_10empty_typeEEENS1_38merge_sort_block_merge_config_selectorISF_SG_EEEEvv.kd
    .uniform_work_group_size: 1
    .uses_dynamic_stack: false
    .vgpr_count:     0
    .vgpr_spill_count: 0
    .wavefront_size: 64
  - .agpr_count:     0
    .args:           []
    .group_segment_fixed_size: 0
    .kernarg_segment_align: 4
    .kernarg_segment_size: 0
    .language:       OpenCL C
    .language_version:
      - 2
      - 0
    .max_flat_workgroup_size: 1024
    .name:           _ZN7rocprim17ROCPRIM_400000_NS6detail44device_merge_sort_compile_time_verifier_archINS1_11comp_targetILNS1_3genE4ELNS1_11target_archE910ELNS1_3gpuE8ELNS1_3repE0EEES8_NS0_14default_configES9_NS1_37merge_sort_block_sort_config_selectorIN6thrust23THRUST_200600_302600_NS5tupleIffNSC_9null_typeESE_SE_SE_SE_SE_SE_SE_EENS0_10empty_typeEEENS1_38merge_sort_block_merge_config_selectorISF_SG_EEEEvv
    .private_segment_fixed_size: 0
    .sgpr_count:     6
    .sgpr_spill_count: 0
    .symbol:         _ZN7rocprim17ROCPRIM_400000_NS6detail44device_merge_sort_compile_time_verifier_archINS1_11comp_targetILNS1_3genE4ELNS1_11target_archE910ELNS1_3gpuE8ELNS1_3repE0EEES8_NS0_14default_configES9_NS1_37merge_sort_block_sort_config_selectorIN6thrust23THRUST_200600_302600_NS5tupleIffNSC_9null_typeESE_SE_SE_SE_SE_SE_SE_EENS0_10empty_typeEEENS1_38merge_sort_block_merge_config_selectorISF_SG_EEEEvv.kd
    .uniform_work_group_size: 1
    .uses_dynamic_stack: false
    .vgpr_count:     0
    .vgpr_spill_count: 0
    .wavefront_size: 64
  - .agpr_count:     0
    .args:           []
    .group_segment_fixed_size: 0
    .kernarg_segment_align: 4
    .kernarg_segment_size: 0
    .language:       OpenCL C
    .language_version:
      - 2
      - 0
    .max_flat_workgroup_size: 1024
    .name:           _ZN7rocprim17ROCPRIM_400000_NS6detail44device_merge_sort_compile_time_verifier_archINS1_11comp_targetILNS1_3genE3ELNS1_11target_archE908ELNS1_3gpuE7ELNS1_3repE0EEES8_NS0_14default_configES9_NS1_37merge_sort_block_sort_config_selectorIN6thrust23THRUST_200600_302600_NS5tupleIffNSC_9null_typeESE_SE_SE_SE_SE_SE_SE_EENS0_10empty_typeEEENS1_38merge_sort_block_merge_config_selectorISF_SG_EEEEvv
    .private_segment_fixed_size: 0
    .sgpr_count:     6
    .sgpr_spill_count: 0
    .symbol:         _ZN7rocprim17ROCPRIM_400000_NS6detail44device_merge_sort_compile_time_verifier_archINS1_11comp_targetILNS1_3genE3ELNS1_11target_archE908ELNS1_3gpuE7ELNS1_3repE0EEES8_NS0_14default_configES9_NS1_37merge_sort_block_sort_config_selectorIN6thrust23THRUST_200600_302600_NS5tupleIffNSC_9null_typeESE_SE_SE_SE_SE_SE_SE_EENS0_10empty_typeEEENS1_38merge_sort_block_merge_config_selectorISF_SG_EEEEvv.kd
    .uniform_work_group_size: 1
    .uses_dynamic_stack: false
    .vgpr_count:     0
    .vgpr_spill_count: 0
    .wavefront_size: 64
  - .agpr_count:     0
    .args:           []
    .group_segment_fixed_size: 0
    .kernarg_segment_align: 4
    .kernarg_segment_size: 0
    .language:       OpenCL C
    .language_version:
      - 2
      - 0
    .max_flat_workgroup_size: 1024
    .name:           _ZN7rocprim17ROCPRIM_400000_NS6detail44device_merge_sort_compile_time_verifier_archINS1_11comp_targetILNS1_3genE2ELNS1_11target_archE906ELNS1_3gpuE6ELNS1_3repE0EEES8_NS0_14default_configES9_NS1_37merge_sort_block_sort_config_selectorIN6thrust23THRUST_200600_302600_NS5tupleIffNSC_9null_typeESE_SE_SE_SE_SE_SE_SE_EENS0_10empty_typeEEENS1_38merge_sort_block_merge_config_selectorISF_SG_EEEEvv
    .private_segment_fixed_size: 0
    .sgpr_count:     6
    .sgpr_spill_count: 0
    .symbol:         _ZN7rocprim17ROCPRIM_400000_NS6detail44device_merge_sort_compile_time_verifier_archINS1_11comp_targetILNS1_3genE2ELNS1_11target_archE906ELNS1_3gpuE6ELNS1_3repE0EEES8_NS0_14default_configES9_NS1_37merge_sort_block_sort_config_selectorIN6thrust23THRUST_200600_302600_NS5tupleIffNSC_9null_typeESE_SE_SE_SE_SE_SE_SE_EENS0_10empty_typeEEENS1_38merge_sort_block_merge_config_selectorISF_SG_EEEEvv.kd
    .uniform_work_group_size: 1
    .uses_dynamic_stack: false
    .vgpr_count:     0
    .vgpr_spill_count: 0
    .wavefront_size: 64
  - .agpr_count:     0
    .args:           []
    .group_segment_fixed_size: 0
    .kernarg_segment_align: 4
    .kernarg_segment_size: 0
    .language:       OpenCL C
    .language_version:
      - 2
      - 0
    .max_flat_workgroup_size: 1024
    .name:           _ZN7rocprim17ROCPRIM_400000_NS6detail44device_merge_sort_compile_time_verifier_archINS1_11comp_targetILNS1_3genE10ELNS1_11target_archE1201ELNS1_3gpuE5ELNS1_3repE0EEES8_NS0_14default_configES9_NS1_37merge_sort_block_sort_config_selectorIN6thrust23THRUST_200600_302600_NS5tupleIffNSC_9null_typeESE_SE_SE_SE_SE_SE_SE_EENS0_10empty_typeEEENS1_38merge_sort_block_merge_config_selectorISF_SG_EEEEvv
    .private_segment_fixed_size: 0
    .sgpr_count:     6
    .sgpr_spill_count: 0
    .symbol:         _ZN7rocprim17ROCPRIM_400000_NS6detail44device_merge_sort_compile_time_verifier_archINS1_11comp_targetILNS1_3genE10ELNS1_11target_archE1201ELNS1_3gpuE5ELNS1_3repE0EEES8_NS0_14default_configES9_NS1_37merge_sort_block_sort_config_selectorIN6thrust23THRUST_200600_302600_NS5tupleIffNSC_9null_typeESE_SE_SE_SE_SE_SE_SE_EENS0_10empty_typeEEENS1_38merge_sort_block_merge_config_selectorISF_SG_EEEEvv.kd
    .uniform_work_group_size: 1
    .uses_dynamic_stack: false
    .vgpr_count:     0
    .vgpr_spill_count: 0
    .wavefront_size: 64
  - .agpr_count:     0
    .args:           []
    .group_segment_fixed_size: 0
    .kernarg_segment_align: 4
    .kernarg_segment_size: 0
    .language:       OpenCL C
    .language_version:
      - 2
      - 0
    .max_flat_workgroup_size: 1024
    .name:           _ZN7rocprim17ROCPRIM_400000_NS6detail44device_merge_sort_compile_time_verifier_archINS1_11comp_targetILNS1_3genE10ELNS1_11target_archE1200ELNS1_3gpuE4ELNS1_3repE0EEENS3_ILS4_10ELS5_1201ELS6_5ELS7_0EEENS0_14default_configESA_NS1_37merge_sort_block_sort_config_selectorIN6thrust23THRUST_200600_302600_NS5tupleIffNSD_9null_typeESF_SF_SF_SF_SF_SF_SF_EENS0_10empty_typeEEENS1_38merge_sort_block_merge_config_selectorISG_SH_EEEEvv
    .private_segment_fixed_size: 0
    .sgpr_count:     6
    .sgpr_spill_count: 0
    .symbol:         _ZN7rocprim17ROCPRIM_400000_NS6detail44device_merge_sort_compile_time_verifier_archINS1_11comp_targetILNS1_3genE10ELNS1_11target_archE1200ELNS1_3gpuE4ELNS1_3repE0EEENS3_ILS4_10ELS5_1201ELS6_5ELS7_0EEENS0_14default_configESA_NS1_37merge_sort_block_sort_config_selectorIN6thrust23THRUST_200600_302600_NS5tupleIffNSD_9null_typeESF_SF_SF_SF_SF_SF_SF_EENS0_10empty_typeEEENS1_38merge_sort_block_merge_config_selectorISG_SH_EEEEvv.kd
    .uniform_work_group_size: 1
    .uses_dynamic_stack: false
    .vgpr_count:     0
    .vgpr_spill_count: 0
    .wavefront_size: 64
  - .agpr_count:     0
    .args:           []
    .group_segment_fixed_size: 0
    .kernarg_segment_align: 4
    .kernarg_segment_size: 0
    .language:       OpenCL C
    .language_version:
      - 2
      - 0
    .max_flat_workgroup_size: 1024
    .name:           _ZN7rocprim17ROCPRIM_400000_NS6detail44device_merge_sort_compile_time_verifier_archINS1_11comp_targetILNS1_3genE9ELNS1_11target_archE1100ELNS1_3gpuE3ELNS1_3repE0EEES8_NS0_14default_configES9_NS1_37merge_sort_block_sort_config_selectorIN6thrust23THRUST_200600_302600_NS5tupleIffNSC_9null_typeESE_SE_SE_SE_SE_SE_SE_EENS0_10empty_typeEEENS1_38merge_sort_block_merge_config_selectorISF_SG_EEEEvv
    .private_segment_fixed_size: 0
    .sgpr_count:     6
    .sgpr_spill_count: 0
    .symbol:         _ZN7rocprim17ROCPRIM_400000_NS6detail44device_merge_sort_compile_time_verifier_archINS1_11comp_targetILNS1_3genE9ELNS1_11target_archE1100ELNS1_3gpuE3ELNS1_3repE0EEES8_NS0_14default_configES9_NS1_37merge_sort_block_sort_config_selectorIN6thrust23THRUST_200600_302600_NS5tupleIffNSC_9null_typeESE_SE_SE_SE_SE_SE_SE_EENS0_10empty_typeEEENS1_38merge_sort_block_merge_config_selectorISF_SG_EEEEvv.kd
    .uniform_work_group_size: 1
    .uses_dynamic_stack: false
    .vgpr_count:     0
    .vgpr_spill_count: 0
    .wavefront_size: 64
  - .agpr_count:     0
    .args:           []
    .group_segment_fixed_size: 0
    .kernarg_segment_align: 4
    .kernarg_segment_size: 0
    .language:       OpenCL C
    .language_version:
      - 2
      - 0
    .max_flat_workgroup_size: 1024
    .name:           _ZN7rocprim17ROCPRIM_400000_NS6detail44device_merge_sort_compile_time_verifier_archINS1_11comp_targetILNS1_3genE8ELNS1_11target_archE1030ELNS1_3gpuE2ELNS1_3repE0EEES8_NS0_14default_configES9_NS1_37merge_sort_block_sort_config_selectorIN6thrust23THRUST_200600_302600_NS5tupleIffNSC_9null_typeESE_SE_SE_SE_SE_SE_SE_EENS0_10empty_typeEEENS1_38merge_sort_block_merge_config_selectorISF_SG_EEEEvv
    .private_segment_fixed_size: 0
    .sgpr_count:     6
    .sgpr_spill_count: 0
    .symbol:         _ZN7rocprim17ROCPRIM_400000_NS6detail44device_merge_sort_compile_time_verifier_archINS1_11comp_targetILNS1_3genE8ELNS1_11target_archE1030ELNS1_3gpuE2ELNS1_3repE0EEES8_NS0_14default_configES9_NS1_37merge_sort_block_sort_config_selectorIN6thrust23THRUST_200600_302600_NS5tupleIffNSC_9null_typeESE_SE_SE_SE_SE_SE_SE_EENS0_10empty_typeEEENS1_38merge_sort_block_merge_config_selectorISF_SG_EEEEvv.kd
    .uniform_work_group_size: 1
    .uses_dynamic_stack: false
    .vgpr_count:     0
    .vgpr_spill_count: 0
    .wavefront_size: 64
  - .agpr_count:     0
    .args:
      - .offset:         0
        .size:           64
        .value_kind:     by_value
    .group_segment_fixed_size: 0
    .kernarg_segment_align: 8
    .kernarg_segment_size: 64
    .language:       OpenCL C
    .language_version:
      - 2
      - 0
    .max_flat_workgroup_size: 256
    .name:           _ZN7rocprim17ROCPRIM_400000_NS6detail17trampoline_kernelINS0_14default_configENS1_37merge_sort_block_sort_config_selectorIN6thrust23THRUST_200600_302600_NS5tupleIffNS6_9null_typeES8_S8_S8_S8_S8_S8_S8_EENS0_10empty_typeEEEZNS1_21merge_sort_block_sortIS3_NS6_6detail15normal_iteratorINS6_10device_ptrIS9_EEEESH_PSA_SI_NS6_4lessIS9_EEEE10hipError_tT0_T1_T2_T3_mRjT4_P12ihipStream_tbNS1_7vsmem_tEEUlT_E_NS1_11comp_targetILNS1_3genE0ELNS1_11target_archE4294967295ELNS1_3gpuE0ELNS1_3repE0EEENS1_30default_config_static_selectorELNS0_4arch9wavefront6targetE1EEEvSN_
    .private_segment_fixed_size: 0
    .sgpr_count:     6
    .sgpr_spill_count: 0
    .symbol:         _ZN7rocprim17ROCPRIM_400000_NS6detail17trampoline_kernelINS0_14default_configENS1_37merge_sort_block_sort_config_selectorIN6thrust23THRUST_200600_302600_NS5tupleIffNS6_9null_typeES8_S8_S8_S8_S8_S8_S8_EENS0_10empty_typeEEEZNS1_21merge_sort_block_sortIS3_NS6_6detail15normal_iteratorINS6_10device_ptrIS9_EEEESH_PSA_SI_NS6_4lessIS9_EEEE10hipError_tT0_T1_T2_T3_mRjT4_P12ihipStream_tbNS1_7vsmem_tEEUlT_E_NS1_11comp_targetILNS1_3genE0ELNS1_11target_archE4294967295ELNS1_3gpuE0ELNS1_3repE0EEENS1_30default_config_static_selectorELNS0_4arch9wavefront6targetE1EEEvSN_.kd
    .uniform_work_group_size: 1
    .uses_dynamic_stack: false
    .vgpr_count:     0
    .vgpr_spill_count: 0
    .wavefront_size: 64
  - .agpr_count:     0
    .args:
      - .offset:         0
        .size:           64
        .value_kind:     by_value
      - .offset:         64
        .size:           4
        .value_kind:     hidden_block_count_x
      - .offset:         68
        .size:           4
        .value_kind:     hidden_block_count_y
      - .offset:         72
        .size:           4
        .value_kind:     hidden_block_count_z
      - .offset:         76
        .size:           2
        .value_kind:     hidden_group_size_x
      - .offset:         78
        .size:           2
        .value_kind:     hidden_group_size_y
      - .offset:         80
        .size:           2
        .value_kind:     hidden_group_size_z
      - .offset:         82
        .size:           2
        .value_kind:     hidden_remainder_x
      - .offset:         84
        .size:           2
        .value_kind:     hidden_remainder_y
      - .offset:         86
        .size:           2
        .value_kind:     hidden_remainder_z
      - .offset:         104
        .size:           8
        .value_kind:     hidden_global_offset_x
      - .offset:         112
        .size:           8
        .value_kind:     hidden_global_offset_y
      - .offset:         120
        .size:           8
        .value_kind:     hidden_global_offset_z
      - .offset:         128
        .size:           2
        .value_kind:     hidden_grid_dims
      - .offset:         144
        .size:           8
        .value_kind:     hidden_hostcall_buffer
      - .offset:         152
        .size:           8
        .value_kind:     hidden_multigrid_sync_arg
      - .offset:         160
        .size:           8
        .value_kind:     hidden_heap_v1
      - .offset:         168
        .size:           8
        .value_kind:     hidden_default_queue
      - .offset:         176
        .size:           8
        .value_kind:     hidden_completion_action
      - .offset:         264
        .size:           8
        .value_kind:     hidden_queue_ptr
    .group_segment_fixed_size: 16896
    .kernarg_segment_align: 8
    .kernarg_segment_size: 320
    .language:       OpenCL C
    .language_version:
      - 2
      - 0
    .max_flat_workgroup_size: 256
    .name:           _ZN7rocprim17ROCPRIM_400000_NS6detail17trampoline_kernelINS0_14default_configENS1_37merge_sort_block_sort_config_selectorIN6thrust23THRUST_200600_302600_NS5tupleIffNS6_9null_typeES8_S8_S8_S8_S8_S8_S8_EENS0_10empty_typeEEEZNS1_21merge_sort_block_sortIS3_NS6_6detail15normal_iteratorINS6_10device_ptrIS9_EEEESH_PSA_SI_NS6_4lessIS9_EEEE10hipError_tT0_T1_T2_T3_mRjT4_P12ihipStream_tbNS1_7vsmem_tEEUlT_E_NS1_11comp_targetILNS1_3genE5ELNS1_11target_archE942ELNS1_3gpuE9ELNS1_3repE0EEENS1_30default_config_static_selectorELNS0_4arch9wavefront6targetE1EEEvSN_
    .private_segment_fixed_size: 8
    .sgpr_count:     55
    .sgpr_spill_count: 0
    .symbol:         _ZN7rocprim17ROCPRIM_400000_NS6detail17trampoline_kernelINS0_14default_configENS1_37merge_sort_block_sort_config_selectorIN6thrust23THRUST_200600_302600_NS5tupleIffNS6_9null_typeES8_S8_S8_S8_S8_S8_S8_EENS0_10empty_typeEEEZNS1_21merge_sort_block_sortIS3_NS6_6detail15normal_iteratorINS6_10device_ptrIS9_EEEESH_PSA_SI_NS6_4lessIS9_EEEE10hipError_tT0_T1_T2_T3_mRjT4_P12ihipStream_tbNS1_7vsmem_tEEUlT_E_NS1_11comp_targetILNS1_3genE5ELNS1_11target_archE942ELNS1_3gpuE9ELNS1_3repE0EEENS1_30default_config_static_selectorELNS0_4arch9wavefront6targetE1EEEvSN_.kd
    .uniform_work_group_size: 1
    .uses_dynamic_stack: false
    .vgpr_count:     72
    .vgpr_spill_count: 0
    .wavefront_size: 64
  - .agpr_count:     0
    .args:
      - .offset:         0
        .size:           64
        .value_kind:     by_value
    .group_segment_fixed_size: 0
    .kernarg_segment_align: 8
    .kernarg_segment_size: 64
    .language:       OpenCL C
    .language_version:
      - 2
      - 0
    .max_flat_workgroup_size: 256
    .name:           _ZN7rocprim17ROCPRIM_400000_NS6detail17trampoline_kernelINS0_14default_configENS1_37merge_sort_block_sort_config_selectorIN6thrust23THRUST_200600_302600_NS5tupleIffNS6_9null_typeES8_S8_S8_S8_S8_S8_S8_EENS0_10empty_typeEEEZNS1_21merge_sort_block_sortIS3_NS6_6detail15normal_iteratorINS6_10device_ptrIS9_EEEESH_PSA_SI_NS6_4lessIS9_EEEE10hipError_tT0_T1_T2_T3_mRjT4_P12ihipStream_tbNS1_7vsmem_tEEUlT_E_NS1_11comp_targetILNS1_3genE4ELNS1_11target_archE910ELNS1_3gpuE8ELNS1_3repE0EEENS1_30default_config_static_selectorELNS0_4arch9wavefront6targetE1EEEvSN_
    .private_segment_fixed_size: 0
    .sgpr_count:     6
    .sgpr_spill_count: 0
    .symbol:         _ZN7rocprim17ROCPRIM_400000_NS6detail17trampoline_kernelINS0_14default_configENS1_37merge_sort_block_sort_config_selectorIN6thrust23THRUST_200600_302600_NS5tupleIffNS6_9null_typeES8_S8_S8_S8_S8_S8_S8_EENS0_10empty_typeEEEZNS1_21merge_sort_block_sortIS3_NS6_6detail15normal_iteratorINS6_10device_ptrIS9_EEEESH_PSA_SI_NS6_4lessIS9_EEEE10hipError_tT0_T1_T2_T3_mRjT4_P12ihipStream_tbNS1_7vsmem_tEEUlT_E_NS1_11comp_targetILNS1_3genE4ELNS1_11target_archE910ELNS1_3gpuE8ELNS1_3repE0EEENS1_30default_config_static_selectorELNS0_4arch9wavefront6targetE1EEEvSN_.kd
    .uniform_work_group_size: 1
    .uses_dynamic_stack: false
    .vgpr_count:     0
    .vgpr_spill_count: 0
    .wavefront_size: 64
  - .agpr_count:     0
    .args:
      - .offset:         0
        .size:           64
        .value_kind:     by_value
    .group_segment_fixed_size: 0
    .kernarg_segment_align: 8
    .kernarg_segment_size: 64
    .language:       OpenCL C
    .language_version:
      - 2
      - 0
    .max_flat_workgroup_size: 256
    .name:           _ZN7rocprim17ROCPRIM_400000_NS6detail17trampoline_kernelINS0_14default_configENS1_37merge_sort_block_sort_config_selectorIN6thrust23THRUST_200600_302600_NS5tupleIffNS6_9null_typeES8_S8_S8_S8_S8_S8_S8_EENS0_10empty_typeEEEZNS1_21merge_sort_block_sortIS3_NS6_6detail15normal_iteratorINS6_10device_ptrIS9_EEEESH_PSA_SI_NS6_4lessIS9_EEEE10hipError_tT0_T1_T2_T3_mRjT4_P12ihipStream_tbNS1_7vsmem_tEEUlT_E_NS1_11comp_targetILNS1_3genE3ELNS1_11target_archE908ELNS1_3gpuE7ELNS1_3repE0EEENS1_30default_config_static_selectorELNS0_4arch9wavefront6targetE1EEEvSN_
    .private_segment_fixed_size: 0
    .sgpr_count:     6
    .sgpr_spill_count: 0
    .symbol:         _ZN7rocprim17ROCPRIM_400000_NS6detail17trampoline_kernelINS0_14default_configENS1_37merge_sort_block_sort_config_selectorIN6thrust23THRUST_200600_302600_NS5tupleIffNS6_9null_typeES8_S8_S8_S8_S8_S8_S8_EENS0_10empty_typeEEEZNS1_21merge_sort_block_sortIS3_NS6_6detail15normal_iteratorINS6_10device_ptrIS9_EEEESH_PSA_SI_NS6_4lessIS9_EEEE10hipError_tT0_T1_T2_T3_mRjT4_P12ihipStream_tbNS1_7vsmem_tEEUlT_E_NS1_11comp_targetILNS1_3genE3ELNS1_11target_archE908ELNS1_3gpuE7ELNS1_3repE0EEENS1_30default_config_static_selectorELNS0_4arch9wavefront6targetE1EEEvSN_.kd
    .uniform_work_group_size: 1
    .uses_dynamic_stack: false
    .vgpr_count:     0
    .vgpr_spill_count: 0
    .wavefront_size: 64
  - .agpr_count:     0
    .args:
      - .offset:         0
        .size:           64
        .value_kind:     by_value
    .group_segment_fixed_size: 0
    .kernarg_segment_align: 8
    .kernarg_segment_size: 64
    .language:       OpenCL C
    .language_version:
      - 2
      - 0
    .max_flat_workgroup_size: 256
    .name:           _ZN7rocprim17ROCPRIM_400000_NS6detail17trampoline_kernelINS0_14default_configENS1_37merge_sort_block_sort_config_selectorIN6thrust23THRUST_200600_302600_NS5tupleIffNS6_9null_typeES8_S8_S8_S8_S8_S8_S8_EENS0_10empty_typeEEEZNS1_21merge_sort_block_sortIS3_NS6_6detail15normal_iteratorINS6_10device_ptrIS9_EEEESH_PSA_SI_NS6_4lessIS9_EEEE10hipError_tT0_T1_T2_T3_mRjT4_P12ihipStream_tbNS1_7vsmem_tEEUlT_E_NS1_11comp_targetILNS1_3genE2ELNS1_11target_archE906ELNS1_3gpuE6ELNS1_3repE0EEENS1_30default_config_static_selectorELNS0_4arch9wavefront6targetE1EEEvSN_
    .private_segment_fixed_size: 0
    .sgpr_count:     6
    .sgpr_spill_count: 0
    .symbol:         _ZN7rocprim17ROCPRIM_400000_NS6detail17trampoline_kernelINS0_14default_configENS1_37merge_sort_block_sort_config_selectorIN6thrust23THRUST_200600_302600_NS5tupleIffNS6_9null_typeES8_S8_S8_S8_S8_S8_S8_EENS0_10empty_typeEEEZNS1_21merge_sort_block_sortIS3_NS6_6detail15normal_iteratorINS6_10device_ptrIS9_EEEESH_PSA_SI_NS6_4lessIS9_EEEE10hipError_tT0_T1_T2_T3_mRjT4_P12ihipStream_tbNS1_7vsmem_tEEUlT_E_NS1_11comp_targetILNS1_3genE2ELNS1_11target_archE906ELNS1_3gpuE6ELNS1_3repE0EEENS1_30default_config_static_selectorELNS0_4arch9wavefront6targetE1EEEvSN_.kd
    .uniform_work_group_size: 1
    .uses_dynamic_stack: false
    .vgpr_count:     0
    .vgpr_spill_count: 0
    .wavefront_size: 64
  - .agpr_count:     0
    .args:
      - .offset:         0
        .size:           64
        .value_kind:     by_value
    .group_segment_fixed_size: 0
    .kernarg_segment_align: 8
    .kernarg_segment_size: 64
    .language:       OpenCL C
    .language_version:
      - 2
      - 0
    .max_flat_workgroup_size: 256
    .name:           _ZN7rocprim17ROCPRIM_400000_NS6detail17trampoline_kernelINS0_14default_configENS1_37merge_sort_block_sort_config_selectorIN6thrust23THRUST_200600_302600_NS5tupleIffNS6_9null_typeES8_S8_S8_S8_S8_S8_S8_EENS0_10empty_typeEEEZNS1_21merge_sort_block_sortIS3_NS6_6detail15normal_iteratorINS6_10device_ptrIS9_EEEESH_PSA_SI_NS6_4lessIS9_EEEE10hipError_tT0_T1_T2_T3_mRjT4_P12ihipStream_tbNS1_7vsmem_tEEUlT_E_NS1_11comp_targetILNS1_3genE10ELNS1_11target_archE1201ELNS1_3gpuE5ELNS1_3repE0EEENS1_30default_config_static_selectorELNS0_4arch9wavefront6targetE1EEEvSN_
    .private_segment_fixed_size: 0
    .sgpr_count:     6
    .sgpr_spill_count: 0
    .symbol:         _ZN7rocprim17ROCPRIM_400000_NS6detail17trampoline_kernelINS0_14default_configENS1_37merge_sort_block_sort_config_selectorIN6thrust23THRUST_200600_302600_NS5tupleIffNS6_9null_typeES8_S8_S8_S8_S8_S8_S8_EENS0_10empty_typeEEEZNS1_21merge_sort_block_sortIS3_NS6_6detail15normal_iteratorINS6_10device_ptrIS9_EEEESH_PSA_SI_NS6_4lessIS9_EEEE10hipError_tT0_T1_T2_T3_mRjT4_P12ihipStream_tbNS1_7vsmem_tEEUlT_E_NS1_11comp_targetILNS1_3genE10ELNS1_11target_archE1201ELNS1_3gpuE5ELNS1_3repE0EEENS1_30default_config_static_selectorELNS0_4arch9wavefront6targetE1EEEvSN_.kd
    .uniform_work_group_size: 1
    .uses_dynamic_stack: false
    .vgpr_count:     0
    .vgpr_spill_count: 0
    .wavefront_size: 64
  - .agpr_count:     0
    .args:
      - .offset:         0
        .size:           64
        .value_kind:     by_value
    .group_segment_fixed_size: 0
    .kernarg_segment_align: 8
    .kernarg_segment_size: 64
    .language:       OpenCL C
    .language_version:
      - 2
      - 0
    .max_flat_workgroup_size: 512
    .name:           _ZN7rocprim17ROCPRIM_400000_NS6detail17trampoline_kernelINS0_14default_configENS1_37merge_sort_block_sort_config_selectorIN6thrust23THRUST_200600_302600_NS5tupleIffNS6_9null_typeES8_S8_S8_S8_S8_S8_S8_EENS0_10empty_typeEEEZNS1_21merge_sort_block_sortIS3_NS6_6detail15normal_iteratorINS6_10device_ptrIS9_EEEESH_PSA_SI_NS6_4lessIS9_EEEE10hipError_tT0_T1_T2_T3_mRjT4_P12ihipStream_tbNS1_7vsmem_tEEUlT_E_NS1_11comp_targetILNS1_3genE10ELNS1_11target_archE1200ELNS1_3gpuE4ELNS1_3repE0EEENS1_30default_config_static_selectorELNS0_4arch9wavefront6targetE1EEEvSN_
    .private_segment_fixed_size: 0
    .sgpr_count:     6
    .sgpr_spill_count: 0
    .symbol:         _ZN7rocprim17ROCPRIM_400000_NS6detail17trampoline_kernelINS0_14default_configENS1_37merge_sort_block_sort_config_selectorIN6thrust23THRUST_200600_302600_NS5tupleIffNS6_9null_typeES8_S8_S8_S8_S8_S8_S8_EENS0_10empty_typeEEEZNS1_21merge_sort_block_sortIS3_NS6_6detail15normal_iteratorINS6_10device_ptrIS9_EEEESH_PSA_SI_NS6_4lessIS9_EEEE10hipError_tT0_T1_T2_T3_mRjT4_P12ihipStream_tbNS1_7vsmem_tEEUlT_E_NS1_11comp_targetILNS1_3genE10ELNS1_11target_archE1200ELNS1_3gpuE4ELNS1_3repE0EEENS1_30default_config_static_selectorELNS0_4arch9wavefront6targetE1EEEvSN_.kd
    .uniform_work_group_size: 1
    .uses_dynamic_stack: false
    .vgpr_count:     0
    .vgpr_spill_count: 0
    .wavefront_size: 64
  - .agpr_count:     0
    .args:
      - .offset:         0
        .size:           64
        .value_kind:     by_value
    .group_segment_fixed_size: 0
    .kernarg_segment_align: 8
    .kernarg_segment_size: 64
    .language:       OpenCL C
    .language_version:
      - 2
      - 0
    .max_flat_workgroup_size: 256
    .name:           _ZN7rocprim17ROCPRIM_400000_NS6detail17trampoline_kernelINS0_14default_configENS1_37merge_sort_block_sort_config_selectorIN6thrust23THRUST_200600_302600_NS5tupleIffNS6_9null_typeES8_S8_S8_S8_S8_S8_S8_EENS0_10empty_typeEEEZNS1_21merge_sort_block_sortIS3_NS6_6detail15normal_iteratorINS6_10device_ptrIS9_EEEESH_PSA_SI_NS6_4lessIS9_EEEE10hipError_tT0_T1_T2_T3_mRjT4_P12ihipStream_tbNS1_7vsmem_tEEUlT_E_NS1_11comp_targetILNS1_3genE9ELNS1_11target_archE1100ELNS1_3gpuE3ELNS1_3repE0EEENS1_30default_config_static_selectorELNS0_4arch9wavefront6targetE1EEEvSN_
    .private_segment_fixed_size: 0
    .sgpr_count:     6
    .sgpr_spill_count: 0
    .symbol:         _ZN7rocprim17ROCPRIM_400000_NS6detail17trampoline_kernelINS0_14default_configENS1_37merge_sort_block_sort_config_selectorIN6thrust23THRUST_200600_302600_NS5tupleIffNS6_9null_typeES8_S8_S8_S8_S8_S8_S8_EENS0_10empty_typeEEEZNS1_21merge_sort_block_sortIS3_NS6_6detail15normal_iteratorINS6_10device_ptrIS9_EEEESH_PSA_SI_NS6_4lessIS9_EEEE10hipError_tT0_T1_T2_T3_mRjT4_P12ihipStream_tbNS1_7vsmem_tEEUlT_E_NS1_11comp_targetILNS1_3genE9ELNS1_11target_archE1100ELNS1_3gpuE3ELNS1_3repE0EEENS1_30default_config_static_selectorELNS0_4arch9wavefront6targetE1EEEvSN_.kd
    .uniform_work_group_size: 1
    .uses_dynamic_stack: false
    .vgpr_count:     0
    .vgpr_spill_count: 0
    .wavefront_size: 64
  - .agpr_count:     0
    .args:
      - .offset:         0
        .size:           64
        .value_kind:     by_value
    .group_segment_fixed_size: 0
    .kernarg_segment_align: 8
    .kernarg_segment_size: 64
    .language:       OpenCL C
    .language_version:
      - 2
      - 0
    .max_flat_workgroup_size: 256
    .name:           _ZN7rocprim17ROCPRIM_400000_NS6detail17trampoline_kernelINS0_14default_configENS1_37merge_sort_block_sort_config_selectorIN6thrust23THRUST_200600_302600_NS5tupleIffNS6_9null_typeES8_S8_S8_S8_S8_S8_S8_EENS0_10empty_typeEEEZNS1_21merge_sort_block_sortIS3_NS6_6detail15normal_iteratorINS6_10device_ptrIS9_EEEESH_PSA_SI_NS6_4lessIS9_EEEE10hipError_tT0_T1_T2_T3_mRjT4_P12ihipStream_tbNS1_7vsmem_tEEUlT_E_NS1_11comp_targetILNS1_3genE8ELNS1_11target_archE1030ELNS1_3gpuE2ELNS1_3repE0EEENS1_30default_config_static_selectorELNS0_4arch9wavefront6targetE1EEEvSN_
    .private_segment_fixed_size: 0
    .sgpr_count:     6
    .sgpr_spill_count: 0
    .symbol:         _ZN7rocprim17ROCPRIM_400000_NS6detail17trampoline_kernelINS0_14default_configENS1_37merge_sort_block_sort_config_selectorIN6thrust23THRUST_200600_302600_NS5tupleIffNS6_9null_typeES8_S8_S8_S8_S8_S8_S8_EENS0_10empty_typeEEEZNS1_21merge_sort_block_sortIS3_NS6_6detail15normal_iteratorINS6_10device_ptrIS9_EEEESH_PSA_SI_NS6_4lessIS9_EEEE10hipError_tT0_T1_T2_T3_mRjT4_P12ihipStream_tbNS1_7vsmem_tEEUlT_E_NS1_11comp_targetILNS1_3genE8ELNS1_11target_archE1030ELNS1_3gpuE2ELNS1_3repE0EEENS1_30default_config_static_selectorELNS0_4arch9wavefront6targetE1EEEvSN_.kd
    .uniform_work_group_size: 1
    .uses_dynamic_stack: false
    .vgpr_count:     0
    .vgpr_spill_count: 0
    .wavefront_size: 64
  - .agpr_count:     0
    .args:
      - .offset:         0
        .size:           48
        .value_kind:     by_value
    .group_segment_fixed_size: 0
    .kernarg_segment_align: 8
    .kernarg_segment_size: 48
    .language:       OpenCL C
    .language_version:
      - 2
      - 0
    .max_flat_workgroup_size: 128
    .name:           _ZN7rocprim17ROCPRIM_400000_NS6detail17trampoline_kernelINS0_14default_configENS1_38merge_sort_block_merge_config_selectorIN6thrust23THRUST_200600_302600_NS5tupleIffNS6_9null_typeES8_S8_S8_S8_S8_S8_S8_EENS0_10empty_typeEEEZZNS1_27merge_sort_block_merge_implIS3_NS6_6detail15normal_iteratorINS6_10device_ptrIS9_EEEEPSA_mNS6_4lessIS9_EEEE10hipError_tT0_T1_T2_jT3_P12ihipStream_tbPNSt15iterator_traitsISM_E10value_typeEPNSS_ISN_E10value_typeEPSO_NS1_7vsmem_tEENKUlT_SM_SN_SO_E_clIPS9_SH_SI_SI_EESL_S11_SM_SN_SO_EUlS11_E_NS1_11comp_targetILNS1_3genE0ELNS1_11target_archE4294967295ELNS1_3gpuE0ELNS1_3repE0EEENS1_48merge_mergepath_partition_config_static_selectorELNS0_4arch9wavefront6targetE1EEEvSN_
    .private_segment_fixed_size: 0
    .sgpr_count:     6
    .sgpr_spill_count: 0
    .symbol:         _ZN7rocprim17ROCPRIM_400000_NS6detail17trampoline_kernelINS0_14default_configENS1_38merge_sort_block_merge_config_selectorIN6thrust23THRUST_200600_302600_NS5tupleIffNS6_9null_typeES8_S8_S8_S8_S8_S8_S8_EENS0_10empty_typeEEEZZNS1_27merge_sort_block_merge_implIS3_NS6_6detail15normal_iteratorINS6_10device_ptrIS9_EEEEPSA_mNS6_4lessIS9_EEEE10hipError_tT0_T1_T2_jT3_P12ihipStream_tbPNSt15iterator_traitsISM_E10value_typeEPNSS_ISN_E10value_typeEPSO_NS1_7vsmem_tEENKUlT_SM_SN_SO_E_clIPS9_SH_SI_SI_EESL_S11_SM_SN_SO_EUlS11_E_NS1_11comp_targetILNS1_3genE0ELNS1_11target_archE4294967295ELNS1_3gpuE0ELNS1_3repE0EEENS1_48merge_mergepath_partition_config_static_selectorELNS0_4arch9wavefront6targetE1EEEvSN_.kd
    .uniform_work_group_size: 1
    .uses_dynamic_stack: false
    .vgpr_count:     0
    .vgpr_spill_count: 0
    .wavefront_size: 64
  - .agpr_count:     0
    .args:
      - .offset:         0
        .size:           48
        .value_kind:     by_value
    .group_segment_fixed_size: 0
    .kernarg_segment_align: 8
    .kernarg_segment_size: 48
    .language:       OpenCL C
    .language_version:
      - 2
      - 0
    .max_flat_workgroup_size: 128
    .name:           _ZN7rocprim17ROCPRIM_400000_NS6detail17trampoline_kernelINS0_14default_configENS1_38merge_sort_block_merge_config_selectorIN6thrust23THRUST_200600_302600_NS5tupleIffNS6_9null_typeES8_S8_S8_S8_S8_S8_S8_EENS0_10empty_typeEEEZZNS1_27merge_sort_block_merge_implIS3_NS6_6detail15normal_iteratorINS6_10device_ptrIS9_EEEEPSA_mNS6_4lessIS9_EEEE10hipError_tT0_T1_T2_jT3_P12ihipStream_tbPNSt15iterator_traitsISM_E10value_typeEPNSS_ISN_E10value_typeEPSO_NS1_7vsmem_tEENKUlT_SM_SN_SO_E_clIPS9_SH_SI_SI_EESL_S11_SM_SN_SO_EUlS11_E_NS1_11comp_targetILNS1_3genE10ELNS1_11target_archE1201ELNS1_3gpuE5ELNS1_3repE0EEENS1_48merge_mergepath_partition_config_static_selectorELNS0_4arch9wavefront6targetE1EEEvSN_
    .private_segment_fixed_size: 0
    .sgpr_count:     6
    .sgpr_spill_count: 0
    .symbol:         _ZN7rocprim17ROCPRIM_400000_NS6detail17trampoline_kernelINS0_14default_configENS1_38merge_sort_block_merge_config_selectorIN6thrust23THRUST_200600_302600_NS5tupleIffNS6_9null_typeES8_S8_S8_S8_S8_S8_S8_EENS0_10empty_typeEEEZZNS1_27merge_sort_block_merge_implIS3_NS6_6detail15normal_iteratorINS6_10device_ptrIS9_EEEEPSA_mNS6_4lessIS9_EEEE10hipError_tT0_T1_T2_jT3_P12ihipStream_tbPNSt15iterator_traitsISM_E10value_typeEPNSS_ISN_E10value_typeEPSO_NS1_7vsmem_tEENKUlT_SM_SN_SO_E_clIPS9_SH_SI_SI_EESL_S11_SM_SN_SO_EUlS11_E_NS1_11comp_targetILNS1_3genE10ELNS1_11target_archE1201ELNS1_3gpuE5ELNS1_3repE0EEENS1_48merge_mergepath_partition_config_static_selectorELNS0_4arch9wavefront6targetE1EEEvSN_.kd
    .uniform_work_group_size: 1
    .uses_dynamic_stack: false
    .vgpr_count:     0
    .vgpr_spill_count: 0
    .wavefront_size: 64
  - .agpr_count:     0
    .args:
      - .offset:         0
        .size:           48
        .value_kind:     by_value
    .group_segment_fixed_size: 0
    .kernarg_segment_align: 8
    .kernarg_segment_size: 48
    .language:       OpenCL C
    .language_version:
      - 2
      - 0
    .max_flat_workgroup_size: 128
    .name:           _ZN7rocprim17ROCPRIM_400000_NS6detail17trampoline_kernelINS0_14default_configENS1_38merge_sort_block_merge_config_selectorIN6thrust23THRUST_200600_302600_NS5tupleIffNS6_9null_typeES8_S8_S8_S8_S8_S8_S8_EENS0_10empty_typeEEEZZNS1_27merge_sort_block_merge_implIS3_NS6_6detail15normal_iteratorINS6_10device_ptrIS9_EEEEPSA_mNS6_4lessIS9_EEEE10hipError_tT0_T1_T2_jT3_P12ihipStream_tbPNSt15iterator_traitsISM_E10value_typeEPNSS_ISN_E10value_typeEPSO_NS1_7vsmem_tEENKUlT_SM_SN_SO_E_clIPS9_SH_SI_SI_EESL_S11_SM_SN_SO_EUlS11_E_NS1_11comp_targetILNS1_3genE5ELNS1_11target_archE942ELNS1_3gpuE9ELNS1_3repE0EEENS1_48merge_mergepath_partition_config_static_selectorELNS0_4arch9wavefront6targetE1EEEvSN_
    .private_segment_fixed_size: 0
    .sgpr_count:     20
    .sgpr_spill_count: 0
    .symbol:         _ZN7rocprim17ROCPRIM_400000_NS6detail17trampoline_kernelINS0_14default_configENS1_38merge_sort_block_merge_config_selectorIN6thrust23THRUST_200600_302600_NS5tupleIffNS6_9null_typeES8_S8_S8_S8_S8_S8_S8_EENS0_10empty_typeEEEZZNS1_27merge_sort_block_merge_implIS3_NS6_6detail15normal_iteratorINS6_10device_ptrIS9_EEEEPSA_mNS6_4lessIS9_EEEE10hipError_tT0_T1_T2_jT3_P12ihipStream_tbPNSt15iterator_traitsISM_E10value_typeEPNSS_ISN_E10value_typeEPSO_NS1_7vsmem_tEENKUlT_SM_SN_SO_E_clIPS9_SH_SI_SI_EESL_S11_SM_SN_SO_EUlS11_E_NS1_11comp_targetILNS1_3genE5ELNS1_11target_archE942ELNS1_3gpuE9ELNS1_3repE0EEENS1_48merge_mergepath_partition_config_static_selectorELNS0_4arch9wavefront6targetE1EEEvSN_.kd
    .uniform_work_group_size: 1
    .uses_dynamic_stack: false
    .vgpr_count:     19
    .vgpr_spill_count: 0
    .wavefront_size: 64
  - .agpr_count:     0
    .args:
      - .offset:         0
        .size:           48
        .value_kind:     by_value
    .group_segment_fixed_size: 0
    .kernarg_segment_align: 8
    .kernarg_segment_size: 48
    .language:       OpenCL C
    .language_version:
      - 2
      - 0
    .max_flat_workgroup_size: 128
    .name:           _ZN7rocprim17ROCPRIM_400000_NS6detail17trampoline_kernelINS0_14default_configENS1_38merge_sort_block_merge_config_selectorIN6thrust23THRUST_200600_302600_NS5tupleIffNS6_9null_typeES8_S8_S8_S8_S8_S8_S8_EENS0_10empty_typeEEEZZNS1_27merge_sort_block_merge_implIS3_NS6_6detail15normal_iteratorINS6_10device_ptrIS9_EEEEPSA_mNS6_4lessIS9_EEEE10hipError_tT0_T1_T2_jT3_P12ihipStream_tbPNSt15iterator_traitsISM_E10value_typeEPNSS_ISN_E10value_typeEPSO_NS1_7vsmem_tEENKUlT_SM_SN_SO_E_clIPS9_SH_SI_SI_EESL_S11_SM_SN_SO_EUlS11_E_NS1_11comp_targetILNS1_3genE4ELNS1_11target_archE910ELNS1_3gpuE8ELNS1_3repE0EEENS1_48merge_mergepath_partition_config_static_selectorELNS0_4arch9wavefront6targetE1EEEvSN_
    .private_segment_fixed_size: 0
    .sgpr_count:     6
    .sgpr_spill_count: 0
    .symbol:         _ZN7rocprim17ROCPRIM_400000_NS6detail17trampoline_kernelINS0_14default_configENS1_38merge_sort_block_merge_config_selectorIN6thrust23THRUST_200600_302600_NS5tupleIffNS6_9null_typeES8_S8_S8_S8_S8_S8_S8_EENS0_10empty_typeEEEZZNS1_27merge_sort_block_merge_implIS3_NS6_6detail15normal_iteratorINS6_10device_ptrIS9_EEEEPSA_mNS6_4lessIS9_EEEE10hipError_tT0_T1_T2_jT3_P12ihipStream_tbPNSt15iterator_traitsISM_E10value_typeEPNSS_ISN_E10value_typeEPSO_NS1_7vsmem_tEENKUlT_SM_SN_SO_E_clIPS9_SH_SI_SI_EESL_S11_SM_SN_SO_EUlS11_E_NS1_11comp_targetILNS1_3genE4ELNS1_11target_archE910ELNS1_3gpuE8ELNS1_3repE0EEENS1_48merge_mergepath_partition_config_static_selectorELNS0_4arch9wavefront6targetE1EEEvSN_.kd
    .uniform_work_group_size: 1
    .uses_dynamic_stack: false
    .vgpr_count:     0
    .vgpr_spill_count: 0
    .wavefront_size: 64
  - .agpr_count:     0
    .args:
      - .offset:         0
        .size:           48
        .value_kind:     by_value
    .group_segment_fixed_size: 0
    .kernarg_segment_align: 8
    .kernarg_segment_size: 48
    .language:       OpenCL C
    .language_version:
      - 2
      - 0
    .max_flat_workgroup_size: 128
    .name:           _ZN7rocprim17ROCPRIM_400000_NS6detail17trampoline_kernelINS0_14default_configENS1_38merge_sort_block_merge_config_selectorIN6thrust23THRUST_200600_302600_NS5tupleIffNS6_9null_typeES8_S8_S8_S8_S8_S8_S8_EENS0_10empty_typeEEEZZNS1_27merge_sort_block_merge_implIS3_NS6_6detail15normal_iteratorINS6_10device_ptrIS9_EEEEPSA_mNS6_4lessIS9_EEEE10hipError_tT0_T1_T2_jT3_P12ihipStream_tbPNSt15iterator_traitsISM_E10value_typeEPNSS_ISN_E10value_typeEPSO_NS1_7vsmem_tEENKUlT_SM_SN_SO_E_clIPS9_SH_SI_SI_EESL_S11_SM_SN_SO_EUlS11_E_NS1_11comp_targetILNS1_3genE3ELNS1_11target_archE908ELNS1_3gpuE7ELNS1_3repE0EEENS1_48merge_mergepath_partition_config_static_selectorELNS0_4arch9wavefront6targetE1EEEvSN_
    .private_segment_fixed_size: 0
    .sgpr_count:     6
    .sgpr_spill_count: 0
    .symbol:         _ZN7rocprim17ROCPRIM_400000_NS6detail17trampoline_kernelINS0_14default_configENS1_38merge_sort_block_merge_config_selectorIN6thrust23THRUST_200600_302600_NS5tupleIffNS6_9null_typeES8_S8_S8_S8_S8_S8_S8_EENS0_10empty_typeEEEZZNS1_27merge_sort_block_merge_implIS3_NS6_6detail15normal_iteratorINS6_10device_ptrIS9_EEEEPSA_mNS6_4lessIS9_EEEE10hipError_tT0_T1_T2_jT3_P12ihipStream_tbPNSt15iterator_traitsISM_E10value_typeEPNSS_ISN_E10value_typeEPSO_NS1_7vsmem_tEENKUlT_SM_SN_SO_E_clIPS9_SH_SI_SI_EESL_S11_SM_SN_SO_EUlS11_E_NS1_11comp_targetILNS1_3genE3ELNS1_11target_archE908ELNS1_3gpuE7ELNS1_3repE0EEENS1_48merge_mergepath_partition_config_static_selectorELNS0_4arch9wavefront6targetE1EEEvSN_.kd
    .uniform_work_group_size: 1
    .uses_dynamic_stack: false
    .vgpr_count:     0
    .vgpr_spill_count: 0
    .wavefront_size: 64
  - .agpr_count:     0
    .args:
      - .offset:         0
        .size:           48
        .value_kind:     by_value
    .group_segment_fixed_size: 0
    .kernarg_segment_align: 8
    .kernarg_segment_size: 48
    .language:       OpenCL C
    .language_version:
      - 2
      - 0
    .max_flat_workgroup_size: 128
    .name:           _ZN7rocprim17ROCPRIM_400000_NS6detail17trampoline_kernelINS0_14default_configENS1_38merge_sort_block_merge_config_selectorIN6thrust23THRUST_200600_302600_NS5tupleIffNS6_9null_typeES8_S8_S8_S8_S8_S8_S8_EENS0_10empty_typeEEEZZNS1_27merge_sort_block_merge_implIS3_NS6_6detail15normal_iteratorINS6_10device_ptrIS9_EEEEPSA_mNS6_4lessIS9_EEEE10hipError_tT0_T1_T2_jT3_P12ihipStream_tbPNSt15iterator_traitsISM_E10value_typeEPNSS_ISN_E10value_typeEPSO_NS1_7vsmem_tEENKUlT_SM_SN_SO_E_clIPS9_SH_SI_SI_EESL_S11_SM_SN_SO_EUlS11_E_NS1_11comp_targetILNS1_3genE2ELNS1_11target_archE906ELNS1_3gpuE6ELNS1_3repE0EEENS1_48merge_mergepath_partition_config_static_selectorELNS0_4arch9wavefront6targetE1EEEvSN_
    .private_segment_fixed_size: 0
    .sgpr_count:     6
    .sgpr_spill_count: 0
    .symbol:         _ZN7rocprim17ROCPRIM_400000_NS6detail17trampoline_kernelINS0_14default_configENS1_38merge_sort_block_merge_config_selectorIN6thrust23THRUST_200600_302600_NS5tupleIffNS6_9null_typeES8_S8_S8_S8_S8_S8_S8_EENS0_10empty_typeEEEZZNS1_27merge_sort_block_merge_implIS3_NS6_6detail15normal_iteratorINS6_10device_ptrIS9_EEEEPSA_mNS6_4lessIS9_EEEE10hipError_tT0_T1_T2_jT3_P12ihipStream_tbPNSt15iterator_traitsISM_E10value_typeEPNSS_ISN_E10value_typeEPSO_NS1_7vsmem_tEENKUlT_SM_SN_SO_E_clIPS9_SH_SI_SI_EESL_S11_SM_SN_SO_EUlS11_E_NS1_11comp_targetILNS1_3genE2ELNS1_11target_archE906ELNS1_3gpuE6ELNS1_3repE0EEENS1_48merge_mergepath_partition_config_static_selectorELNS0_4arch9wavefront6targetE1EEEvSN_.kd
    .uniform_work_group_size: 1
    .uses_dynamic_stack: false
    .vgpr_count:     0
    .vgpr_spill_count: 0
    .wavefront_size: 64
  - .agpr_count:     0
    .args:
      - .offset:         0
        .size:           48
        .value_kind:     by_value
    .group_segment_fixed_size: 0
    .kernarg_segment_align: 8
    .kernarg_segment_size: 48
    .language:       OpenCL C
    .language_version:
      - 2
      - 0
    .max_flat_workgroup_size: 128
    .name:           _ZN7rocprim17ROCPRIM_400000_NS6detail17trampoline_kernelINS0_14default_configENS1_38merge_sort_block_merge_config_selectorIN6thrust23THRUST_200600_302600_NS5tupleIffNS6_9null_typeES8_S8_S8_S8_S8_S8_S8_EENS0_10empty_typeEEEZZNS1_27merge_sort_block_merge_implIS3_NS6_6detail15normal_iteratorINS6_10device_ptrIS9_EEEEPSA_mNS6_4lessIS9_EEEE10hipError_tT0_T1_T2_jT3_P12ihipStream_tbPNSt15iterator_traitsISM_E10value_typeEPNSS_ISN_E10value_typeEPSO_NS1_7vsmem_tEENKUlT_SM_SN_SO_E_clIPS9_SH_SI_SI_EESL_S11_SM_SN_SO_EUlS11_E_NS1_11comp_targetILNS1_3genE9ELNS1_11target_archE1100ELNS1_3gpuE3ELNS1_3repE0EEENS1_48merge_mergepath_partition_config_static_selectorELNS0_4arch9wavefront6targetE1EEEvSN_
    .private_segment_fixed_size: 0
    .sgpr_count:     6
    .sgpr_spill_count: 0
    .symbol:         _ZN7rocprim17ROCPRIM_400000_NS6detail17trampoline_kernelINS0_14default_configENS1_38merge_sort_block_merge_config_selectorIN6thrust23THRUST_200600_302600_NS5tupleIffNS6_9null_typeES8_S8_S8_S8_S8_S8_S8_EENS0_10empty_typeEEEZZNS1_27merge_sort_block_merge_implIS3_NS6_6detail15normal_iteratorINS6_10device_ptrIS9_EEEEPSA_mNS6_4lessIS9_EEEE10hipError_tT0_T1_T2_jT3_P12ihipStream_tbPNSt15iterator_traitsISM_E10value_typeEPNSS_ISN_E10value_typeEPSO_NS1_7vsmem_tEENKUlT_SM_SN_SO_E_clIPS9_SH_SI_SI_EESL_S11_SM_SN_SO_EUlS11_E_NS1_11comp_targetILNS1_3genE9ELNS1_11target_archE1100ELNS1_3gpuE3ELNS1_3repE0EEENS1_48merge_mergepath_partition_config_static_selectorELNS0_4arch9wavefront6targetE1EEEvSN_.kd
    .uniform_work_group_size: 1
    .uses_dynamic_stack: false
    .vgpr_count:     0
    .vgpr_spill_count: 0
    .wavefront_size: 64
  - .agpr_count:     0
    .args:
      - .offset:         0
        .size:           48
        .value_kind:     by_value
    .group_segment_fixed_size: 0
    .kernarg_segment_align: 8
    .kernarg_segment_size: 48
    .language:       OpenCL C
    .language_version:
      - 2
      - 0
    .max_flat_workgroup_size: 128
    .name:           _ZN7rocprim17ROCPRIM_400000_NS6detail17trampoline_kernelINS0_14default_configENS1_38merge_sort_block_merge_config_selectorIN6thrust23THRUST_200600_302600_NS5tupleIffNS6_9null_typeES8_S8_S8_S8_S8_S8_S8_EENS0_10empty_typeEEEZZNS1_27merge_sort_block_merge_implIS3_NS6_6detail15normal_iteratorINS6_10device_ptrIS9_EEEEPSA_mNS6_4lessIS9_EEEE10hipError_tT0_T1_T2_jT3_P12ihipStream_tbPNSt15iterator_traitsISM_E10value_typeEPNSS_ISN_E10value_typeEPSO_NS1_7vsmem_tEENKUlT_SM_SN_SO_E_clIPS9_SH_SI_SI_EESL_S11_SM_SN_SO_EUlS11_E_NS1_11comp_targetILNS1_3genE8ELNS1_11target_archE1030ELNS1_3gpuE2ELNS1_3repE0EEENS1_48merge_mergepath_partition_config_static_selectorELNS0_4arch9wavefront6targetE1EEEvSN_
    .private_segment_fixed_size: 0
    .sgpr_count:     6
    .sgpr_spill_count: 0
    .symbol:         _ZN7rocprim17ROCPRIM_400000_NS6detail17trampoline_kernelINS0_14default_configENS1_38merge_sort_block_merge_config_selectorIN6thrust23THRUST_200600_302600_NS5tupleIffNS6_9null_typeES8_S8_S8_S8_S8_S8_S8_EENS0_10empty_typeEEEZZNS1_27merge_sort_block_merge_implIS3_NS6_6detail15normal_iteratorINS6_10device_ptrIS9_EEEEPSA_mNS6_4lessIS9_EEEE10hipError_tT0_T1_T2_jT3_P12ihipStream_tbPNSt15iterator_traitsISM_E10value_typeEPNSS_ISN_E10value_typeEPSO_NS1_7vsmem_tEENKUlT_SM_SN_SO_E_clIPS9_SH_SI_SI_EESL_S11_SM_SN_SO_EUlS11_E_NS1_11comp_targetILNS1_3genE8ELNS1_11target_archE1030ELNS1_3gpuE2ELNS1_3repE0EEENS1_48merge_mergepath_partition_config_static_selectorELNS0_4arch9wavefront6targetE1EEEvSN_.kd
    .uniform_work_group_size: 1
    .uses_dynamic_stack: false
    .vgpr_count:     0
    .vgpr_spill_count: 0
    .wavefront_size: 64
  - .agpr_count:     0
    .args:
      - .offset:         0
        .size:           72
        .value_kind:     by_value
    .group_segment_fixed_size: 0
    .kernarg_segment_align: 8
    .kernarg_segment_size: 72
    .language:       OpenCL C
    .language_version:
      - 2
      - 0
    .max_flat_workgroup_size: 128
    .name:           _ZN7rocprim17ROCPRIM_400000_NS6detail17trampoline_kernelINS0_14default_configENS1_38merge_sort_block_merge_config_selectorIN6thrust23THRUST_200600_302600_NS5tupleIffNS6_9null_typeES8_S8_S8_S8_S8_S8_S8_EENS0_10empty_typeEEEZZNS1_27merge_sort_block_merge_implIS3_NS6_6detail15normal_iteratorINS6_10device_ptrIS9_EEEEPSA_mNS6_4lessIS9_EEEE10hipError_tT0_T1_T2_jT3_P12ihipStream_tbPNSt15iterator_traitsISM_E10value_typeEPNSS_ISN_E10value_typeEPSO_NS1_7vsmem_tEENKUlT_SM_SN_SO_E_clIPS9_SH_SI_SI_EESL_S11_SM_SN_SO_EUlS11_E0_NS1_11comp_targetILNS1_3genE0ELNS1_11target_archE4294967295ELNS1_3gpuE0ELNS1_3repE0EEENS1_38merge_mergepath_config_static_selectorELNS0_4arch9wavefront6targetE1EEEvSN_
    .private_segment_fixed_size: 0
    .sgpr_count:     6
    .sgpr_spill_count: 0
    .symbol:         _ZN7rocprim17ROCPRIM_400000_NS6detail17trampoline_kernelINS0_14default_configENS1_38merge_sort_block_merge_config_selectorIN6thrust23THRUST_200600_302600_NS5tupleIffNS6_9null_typeES8_S8_S8_S8_S8_S8_S8_EENS0_10empty_typeEEEZZNS1_27merge_sort_block_merge_implIS3_NS6_6detail15normal_iteratorINS6_10device_ptrIS9_EEEEPSA_mNS6_4lessIS9_EEEE10hipError_tT0_T1_T2_jT3_P12ihipStream_tbPNSt15iterator_traitsISM_E10value_typeEPNSS_ISN_E10value_typeEPSO_NS1_7vsmem_tEENKUlT_SM_SN_SO_E_clIPS9_SH_SI_SI_EESL_S11_SM_SN_SO_EUlS11_E0_NS1_11comp_targetILNS1_3genE0ELNS1_11target_archE4294967295ELNS1_3gpuE0ELNS1_3repE0EEENS1_38merge_mergepath_config_static_selectorELNS0_4arch9wavefront6targetE1EEEvSN_.kd
    .uniform_work_group_size: 1
    .uses_dynamic_stack: false
    .vgpr_count:     0
    .vgpr_spill_count: 0
    .wavefront_size: 64
  - .agpr_count:     0
    .args:
      - .offset:         0
        .size:           72
        .value_kind:     by_value
    .group_segment_fixed_size: 0
    .kernarg_segment_align: 8
    .kernarg_segment_size: 72
    .language:       OpenCL C
    .language_version:
      - 2
      - 0
    .max_flat_workgroup_size: 512
    .name:           _ZN7rocprim17ROCPRIM_400000_NS6detail17trampoline_kernelINS0_14default_configENS1_38merge_sort_block_merge_config_selectorIN6thrust23THRUST_200600_302600_NS5tupleIffNS6_9null_typeES8_S8_S8_S8_S8_S8_S8_EENS0_10empty_typeEEEZZNS1_27merge_sort_block_merge_implIS3_NS6_6detail15normal_iteratorINS6_10device_ptrIS9_EEEEPSA_mNS6_4lessIS9_EEEE10hipError_tT0_T1_T2_jT3_P12ihipStream_tbPNSt15iterator_traitsISM_E10value_typeEPNSS_ISN_E10value_typeEPSO_NS1_7vsmem_tEENKUlT_SM_SN_SO_E_clIPS9_SH_SI_SI_EESL_S11_SM_SN_SO_EUlS11_E0_NS1_11comp_targetILNS1_3genE10ELNS1_11target_archE1201ELNS1_3gpuE5ELNS1_3repE0EEENS1_38merge_mergepath_config_static_selectorELNS0_4arch9wavefront6targetE1EEEvSN_
    .private_segment_fixed_size: 0
    .sgpr_count:     6
    .sgpr_spill_count: 0
    .symbol:         _ZN7rocprim17ROCPRIM_400000_NS6detail17trampoline_kernelINS0_14default_configENS1_38merge_sort_block_merge_config_selectorIN6thrust23THRUST_200600_302600_NS5tupleIffNS6_9null_typeES8_S8_S8_S8_S8_S8_S8_EENS0_10empty_typeEEEZZNS1_27merge_sort_block_merge_implIS3_NS6_6detail15normal_iteratorINS6_10device_ptrIS9_EEEEPSA_mNS6_4lessIS9_EEEE10hipError_tT0_T1_T2_jT3_P12ihipStream_tbPNSt15iterator_traitsISM_E10value_typeEPNSS_ISN_E10value_typeEPSO_NS1_7vsmem_tEENKUlT_SM_SN_SO_E_clIPS9_SH_SI_SI_EESL_S11_SM_SN_SO_EUlS11_E0_NS1_11comp_targetILNS1_3genE10ELNS1_11target_archE1201ELNS1_3gpuE5ELNS1_3repE0EEENS1_38merge_mergepath_config_static_selectorELNS0_4arch9wavefront6targetE1EEEvSN_.kd
    .uniform_work_group_size: 1
    .uses_dynamic_stack: false
    .vgpr_count:     0
    .vgpr_spill_count: 0
    .wavefront_size: 64
  - .agpr_count:     0
    .args:
      - .offset:         0
        .size:           72
        .value_kind:     by_value
      - .offset:         72
        .size:           4
        .value_kind:     hidden_block_count_x
      - .offset:         76
        .size:           4
        .value_kind:     hidden_block_count_y
      - .offset:         80
        .size:           4
        .value_kind:     hidden_block_count_z
      - .offset:         84
        .size:           2
        .value_kind:     hidden_group_size_x
      - .offset:         86
        .size:           2
        .value_kind:     hidden_group_size_y
      - .offset:         88
        .size:           2
        .value_kind:     hidden_group_size_z
      - .offset:         90
        .size:           2
        .value_kind:     hidden_remainder_x
      - .offset:         92
        .size:           2
        .value_kind:     hidden_remainder_y
      - .offset:         94
        .size:           2
        .value_kind:     hidden_remainder_z
      - .offset:         112
        .size:           8
        .value_kind:     hidden_global_offset_x
      - .offset:         120
        .size:           8
        .value_kind:     hidden_global_offset_y
      - .offset:         128
        .size:           8
        .value_kind:     hidden_global_offset_z
      - .offset:         136
        .size:           2
        .value_kind:     hidden_grid_dims
    .group_segment_fixed_size: 8448
    .kernarg_segment_align: 8
    .kernarg_segment_size: 328
    .language:       OpenCL C
    .language_version:
      - 2
      - 0
    .max_flat_workgroup_size: 128
    .name:           _ZN7rocprim17ROCPRIM_400000_NS6detail17trampoline_kernelINS0_14default_configENS1_38merge_sort_block_merge_config_selectorIN6thrust23THRUST_200600_302600_NS5tupleIffNS6_9null_typeES8_S8_S8_S8_S8_S8_S8_EENS0_10empty_typeEEEZZNS1_27merge_sort_block_merge_implIS3_NS6_6detail15normal_iteratorINS6_10device_ptrIS9_EEEEPSA_mNS6_4lessIS9_EEEE10hipError_tT0_T1_T2_jT3_P12ihipStream_tbPNSt15iterator_traitsISM_E10value_typeEPNSS_ISN_E10value_typeEPSO_NS1_7vsmem_tEENKUlT_SM_SN_SO_E_clIPS9_SH_SI_SI_EESL_S11_SM_SN_SO_EUlS11_E0_NS1_11comp_targetILNS1_3genE5ELNS1_11target_archE942ELNS1_3gpuE9ELNS1_3repE0EEENS1_38merge_mergepath_config_static_selectorELNS0_4arch9wavefront6targetE1EEEvSN_
    .private_segment_fixed_size: 0
    .sgpr_count:     38
    .sgpr_spill_count: 0
    .symbol:         _ZN7rocprim17ROCPRIM_400000_NS6detail17trampoline_kernelINS0_14default_configENS1_38merge_sort_block_merge_config_selectorIN6thrust23THRUST_200600_302600_NS5tupleIffNS6_9null_typeES8_S8_S8_S8_S8_S8_S8_EENS0_10empty_typeEEEZZNS1_27merge_sort_block_merge_implIS3_NS6_6detail15normal_iteratorINS6_10device_ptrIS9_EEEEPSA_mNS6_4lessIS9_EEEE10hipError_tT0_T1_T2_jT3_P12ihipStream_tbPNSt15iterator_traitsISM_E10value_typeEPNSS_ISN_E10value_typeEPSO_NS1_7vsmem_tEENKUlT_SM_SN_SO_E_clIPS9_SH_SI_SI_EESL_S11_SM_SN_SO_EUlS11_E0_NS1_11comp_targetILNS1_3genE5ELNS1_11target_archE942ELNS1_3gpuE9ELNS1_3repE0EEENS1_38merge_mergepath_config_static_selectorELNS0_4arch9wavefront6targetE1EEEvSN_.kd
    .uniform_work_group_size: 1
    .uses_dynamic_stack: false
    .vgpr_count:     39
    .vgpr_spill_count: 0
    .wavefront_size: 64
  - .agpr_count:     0
    .args:
      - .offset:         0
        .size:           72
        .value_kind:     by_value
    .group_segment_fixed_size: 0
    .kernarg_segment_align: 8
    .kernarg_segment_size: 72
    .language:       OpenCL C
    .language_version:
      - 2
      - 0
    .max_flat_workgroup_size: 256
    .name:           _ZN7rocprim17ROCPRIM_400000_NS6detail17trampoline_kernelINS0_14default_configENS1_38merge_sort_block_merge_config_selectorIN6thrust23THRUST_200600_302600_NS5tupleIffNS6_9null_typeES8_S8_S8_S8_S8_S8_S8_EENS0_10empty_typeEEEZZNS1_27merge_sort_block_merge_implIS3_NS6_6detail15normal_iteratorINS6_10device_ptrIS9_EEEEPSA_mNS6_4lessIS9_EEEE10hipError_tT0_T1_T2_jT3_P12ihipStream_tbPNSt15iterator_traitsISM_E10value_typeEPNSS_ISN_E10value_typeEPSO_NS1_7vsmem_tEENKUlT_SM_SN_SO_E_clIPS9_SH_SI_SI_EESL_S11_SM_SN_SO_EUlS11_E0_NS1_11comp_targetILNS1_3genE4ELNS1_11target_archE910ELNS1_3gpuE8ELNS1_3repE0EEENS1_38merge_mergepath_config_static_selectorELNS0_4arch9wavefront6targetE1EEEvSN_
    .private_segment_fixed_size: 0
    .sgpr_count:     6
    .sgpr_spill_count: 0
    .symbol:         _ZN7rocprim17ROCPRIM_400000_NS6detail17trampoline_kernelINS0_14default_configENS1_38merge_sort_block_merge_config_selectorIN6thrust23THRUST_200600_302600_NS5tupleIffNS6_9null_typeES8_S8_S8_S8_S8_S8_S8_EENS0_10empty_typeEEEZZNS1_27merge_sort_block_merge_implIS3_NS6_6detail15normal_iteratorINS6_10device_ptrIS9_EEEEPSA_mNS6_4lessIS9_EEEE10hipError_tT0_T1_T2_jT3_P12ihipStream_tbPNSt15iterator_traitsISM_E10value_typeEPNSS_ISN_E10value_typeEPSO_NS1_7vsmem_tEENKUlT_SM_SN_SO_E_clIPS9_SH_SI_SI_EESL_S11_SM_SN_SO_EUlS11_E0_NS1_11comp_targetILNS1_3genE4ELNS1_11target_archE910ELNS1_3gpuE8ELNS1_3repE0EEENS1_38merge_mergepath_config_static_selectorELNS0_4arch9wavefront6targetE1EEEvSN_.kd
    .uniform_work_group_size: 1
    .uses_dynamic_stack: false
    .vgpr_count:     0
    .vgpr_spill_count: 0
    .wavefront_size: 64
  - .agpr_count:     0
    .args:
      - .offset:         0
        .size:           72
        .value_kind:     by_value
    .group_segment_fixed_size: 0
    .kernarg_segment_align: 8
    .kernarg_segment_size: 72
    .language:       OpenCL C
    .language_version:
      - 2
      - 0
    .max_flat_workgroup_size: 128
    .name:           _ZN7rocprim17ROCPRIM_400000_NS6detail17trampoline_kernelINS0_14default_configENS1_38merge_sort_block_merge_config_selectorIN6thrust23THRUST_200600_302600_NS5tupleIffNS6_9null_typeES8_S8_S8_S8_S8_S8_S8_EENS0_10empty_typeEEEZZNS1_27merge_sort_block_merge_implIS3_NS6_6detail15normal_iteratorINS6_10device_ptrIS9_EEEEPSA_mNS6_4lessIS9_EEEE10hipError_tT0_T1_T2_jT3_P12ihipStream_tbPNSt15iterator_traitsISM_E10value_typeEPNSS_ISN_E10value_typeEPSO_NS1_7vsmem_tEENKUlT_SM_SN_SO_E_clIPS9_SH_SI_SI_EESL_S11_SM_SN_SO_EUlS11_E0_NS1_11comp_targetILNS1_3genE3ELNS1_11target_archE908ELNS1_3gpuE7ELNS1_3repE0EEENS1_38merge_mergepath_config_static_selectorELNS0_4arch9wavefront6targetE1EEEvSN_
    .private_segment_fixed_size: 0
    .sgpr_count:     6
    .sgpr_spill_count: 0
    .symbol:         _ZN7rocprim17ROCPRIM_400000_NS6detail17trampoline_kernelINS0_14default_configENS1_38merge_sort_block_merge_config_selectorIN6thrust23THRUST_200600_302600_NS5tupleIffNS6_9null_typeES8_S8_S8_S8_S8_S8_S8_EENS0_10empty_typeEEEZZNS1_27merge_sort_block_merge_implIS3_NS6_6detail15normal_iteratorINS6_10device_ptrIS9_EEEEPSA_mNS6_4lessIS9_EEEE10hipError_tT0_T1_T2_jT3_P12ihipStream_tbPNSt15iterator_traitsISM_E10value_typeEPNSS_ISN_E10value_typeEPSO_NS1_7vsmem_tEENKUlT_SM_SN_SO_E_clIPS9_SH_SI_SI_EESL_S11_SM_SN_SO_EUlS11_E0_NS1_11comp_targetILNS1_3genE3ELNS1_11target_archE908ELNS1_3gpuE7ELNS1_3repE0EEENS1_38merge_mergepath_config_static_selectorELNS0_4arch9wavefront6targetE1EEEvSN_.kd
    .uniform_work_group_size: 1
    .uses_dynamic_stack: false
    .vgpr_count:     0
    .vgpr_spill_count: 0
    .wavefront_size: 64
  - .agpr_count:     0
    .args:
      - .offset:         0
        .size:           72
        .value_kind:     by_value
    .group_segment_fixed_size: 0
    .kernarg_segment_align: 8
    .kernarg_segment_size: 72
    .language:       OpenCL C
    .language_version:
      - 2
      - 0
    .max_flat_workgroup_size: 256
    .name:           _ZN7rocprim17ROCPRIM_400000_NS6detail17trampoline_kernelINS0_14default_configENS1_38merge_sort_block_merge_config_selectorIN6thrust23THRUST_200600_302600_NS5tupleIffNS6_9null_typeES8_S8_S8_S8_S8_S8_S8_EENS0_10empty_typeEEEZZNS1_27merge_sort_block_merge_implIS3_NS6_6detail15normal_iteratorINS6_10device_ptrIS9_EEEEPSA_mNS6_4lessIS9_EEEE10hipError_tT0_T1_T2_jT3_P12ihipStream_tbPNSt15iterator_traitsISM_E10value_typeEPNSS_ISN_E10value_typeEPSO_NS1_7vsmem_tEENKUlT_SM_SN_SO_E_clIPS9_SH_SI_SI_EESL_S11_SM_SN_SO_EUlS11_E0_NS1_11comp_targetILNS1_3genE2ELNS1_11target_archE906ELNS1_3gpuE6ELNS1_3repE0EEENS1_38merge_mergepath_config_static_selectorELNS0_4arch9wavefront6targetE1EEEvSN_
    .private_segment_fixed_size: 0
    .sgpr_count:     6
    .sgpr_spill_count: 0
    .symbol:         _ZN7rocprim17ROCPRIM_400000_NS6detail17trampoline_kernelINS0_14default_configENS1_38merge_sort_block_merge_config_selectorIN6thrust23THRUST_200600_302600_NS5tupleIffNS6_9null_typeES8_S8_S8_S8_S8_S8_S8_EENS0_10empty_typeEEEZZNS1_27merge_sort_block_merge_implIS3_NS6_6detail15normal_iteratorINS6_10device_ptrIS9_EEEEPSA_mNS6_4lessIS9_EEEE10hipError_tT0_T1_T2_jT3_P12ihipStream_tbPNSt15iterator_traitsISM_E10value_typeEPNSS_ISN_E10value_typeEPSO_NS1_7vsmem_tEENKUlT_SM_SN_SO_E_clIPS9_SH_SI_SI_EESL_S11_SM_SN_SO_EUlS11_E0_NS1_11comp_targetILNS1_3genE2ELNS1_11target_archE906ELNS1_3gpuE6ELNS1_3repE0EEENS1_38merge_mergepath_config_static_selectorELNS0_4arch9wavefront6targetE1EEEvSN_.kd
    .uniform_work_group_size: 1
    .uses_dynamic_stack: false
    .vgpr_count:     0
    .vgpr_spill_count: 0
    .wavefront_size: 64
  - .agpr_count:     0
    .args:
      - .offset:         0
        .size:           72
        .value_kind:     by_value
    .group_segment_fixed_size: 0
    .kernarg_segment_align: 8
    .kernarg_segment_size: 72
    .language:       OpenCL C
    .language_version:
      - 2
      - 0
    .max_flat_workgroup_size: 512
    .name:           _ZN7rocprim17ROCPRIM_400000_NS6detail17trampoline_kernelINS0_14default_configENS1_38merge_sort_block_merge_config_selectorIN6thrust23THRUST_200600_302600_NS5tupleIffNS6_9null_typeES8_S8_S8_S8_S8_S8_S8_EENS0_10empty_typeEEEZZNS1_27merge_sort_block_merge_implIS3_NS6_6detail15normal_iteratorINS6_10device_ptrIS9_EEEEPSA_mNS6_4lessIS9_EEEE10hipError_tT0_T1_T2_jT3_P12ihipStream_tbPNSt15iterator_traitsISM_E10value_typeEPNSS_ISN_E10value_typeEPSO_NS1_7vsmem_tEENKUlT_SM_SN_SO_E_clIPS9_SH_SI_SI_EESL_S11_SM_SN_SO_EUlS11_E0_NS1_11comp_targetILNS1_3genE9ELNS1_11target_archE1100ELNS1_3gpuE3ELNS1_3repE0EEENS1_38merge_mergepath_config_static_selectorELNS0_4arch9wavefront6targetE1EEEvSN_
    .private_segment_fixed_size: 0
    .sgpr_count:     6
    .sgpr_spill_count: 0
    .symbol:         _ZN7rocprim17ROCPRIM_400000_NS6detail17trampoline_kernelINS0_14default_configENS1_38merge_sort_block_merge_config_selectorIN6thrust23THRUST_200600_302600_NS5tupleIffNS6_9null_typeES8_S8_S8_S8_S8_S8_S8_EENS0_10empty_typeEEEZZNS1_27merge_sort_block_merge_implIS3_NS6_6detail15normal_iteratorINS6_10device_ptrIS9_EEEEPSA_mNS6_4lessIS9_EEEE10hipError_tT0_T1_T2_jT3_P12ihipStream_tbPNSt15iterator_traitsISM_E10value_typeEPNSS_ISN_E10value_typeEPSO_NS1_7vsmem_tEENKUlT_SM_SN_SO_E_clIPS9_SH_SI_SI_EESL_S11_SM_SN_SO_EUlS11_E0_NS1_11comp_targetILNS1_3genE9ELNS1_11target_archE1100ELNS1_3gpuE3ELNS1_3repE0EEENS1_38merge_mergepath_config_static_selectorELNS0_4arch9wavefront6targetE1EEEvSN_.kd
    .uniform_work_group_size: 1
    .uses_dynamic_stack: false
    .vgpr_count:     0
    .vgpr_spill_count: 0
    .wavefront_size: 64
  - .agpr_count:     0
    .args:
      - .offset:         0
        .size:           72
        .value_kind:     by_value
    .group_segment_fixed_size: 0
    .kernarg_segment_align: 8
    .kernarg_segment_size: 72
    .language:       OpenCL C
    .language_version:
      - 2
      - 0
    .max_flat_workgroup_size: 1024
    .name:           _ZN7rocprim17ROCPRIM_400000_NS6detail17trampoline_kernelINS0_14default_configENS1_38merge_sort_block_merge_config_selectorIN6thrust23THRUST_200600_302600_NS5tupleIffNS6_9null_typeES8_S8_S8_S8_S8_S8_S8_EENS0_10empty_typeEEEZZNS1_27merge_sort_block_merge_implIS3_NS6_6detail15normal_iteratorINS6_10device_ptrIS9_EEEEPSA_mNS6_4lessIS9_EEEE10hipError_tT0_T1_T2_jT3_P12ihipStream_tbPNSt15iterator_traitsISM_E10value_typeEPNSS_ISN_E10value_typeEPSO_NS1_7vsmem_tEENKUlT_SM_SN_SO_E_clIPS9_SH_SI_SI_EESL_S11_SM_SN_SO_EUlS11_E0_NS1_11comp_targetILNS1_3genE8ELNS1_11target_archE1030ELNS1_3gpuE2ELNS1_3repE0EEENS1_38merge_mergepath_config_static_selectorELNS0_4arch9wavefront6targetE1EEEvSN_
    .private_segment_fixed_size: 0
    .sgpr_count:     6
    .sgpr_spill_count: 0
    .symbol:         _ZN7rocprim17ROCPRIM_400000_NS6detail17trampoline_kernelINS0_14default_configENS1_38merge_sort_block_merge_config_selectorIN6thrust23THRUST_200600_302600_NS5tupleIffNS6_9null_typeES8_S8_S8_S8_S8_S8_S8_EENS0_10empty_typeEEEZZNS1_27merge_sort_block_merge_implIS3_NS6_6detail15normal_iteratorINS6_10device_ptrIS9_EEEEPSA_mNS6_4lessIS9_EEEE10hipError_tT0_T1_T2_jT3_P12ihipStream_tbPNSt15iterator_traitsISM_E10value_typeEPNSS_ISN_E10value_typeEPSO_NS1_7vsmem_tEENKUlT_SM_SN_SO_E_clIPS9_SH_SI_SI_EESL_S11_SM_SN_SO_EUlS11_E0_NS1_11comp_targetILNS1_3genE8ELNS1_11target_archE1030ELNS1_3gpuE2ELNS1_3repE0EEENS1_38merge_mergepath_config_static_selectorELNS0_4arch9wavefront6targetE1EEEvSN_.kd
    .uniform_work_group_size: 1
    .uses_dynamic_stack: false
    .vgpr_count:     0
    .vgpr_spill_count: 0
    .wavefront_size: 64
  - .agpr_count:     0
    .args:
      - .offset:         0
        .size:           56
        .value_kind:     by_value
    .group_segment_fixed_size: 0
    .kernarg_segment_align: 8
    .kernarg_segment_size: 56
    .language:       OpenCL C
    .language_version:
      - 2
      - 0
    .max_flat_workgroup_size: 256
    .name:           _ZN7rocprim17ROCPRIM_400000_NS6detail17trampoline_kernelINS0_14default_configENS1_38merge_sort_block_merge_config_selectorIN6thrust23THRUST_200600_302600_NS5tupleIffNS6_9null_typeES8_S8_S8_S8_S8_S8_S8_EENS0_10empty_typeEEEZZNS1_27merge_sort_block_merge_implIS3_NS6_6detail15normal_iteratorINS6_10device_ptrIS9_EEEEPSA_mNS6_4lessIS9_EEEE10hipError_tT0_T1_T2_jT3_P12ihipStream_tbPNSt15iterator_traitsISM_E10value_typeEPNSS_ISN_E10value_typeEPSO_NS1_7vsmem_tEENKUlT_SM_SN_SO_E_clIPS9_SH_SI_SI_EESL_S11_SM_SN_SO_EUlS11_E1_NS1_11comp_targetILNS1_3genE0ELNS1_11target_archE4294967295ELNS1_3gpuE0ELNS1_3repE0EEENS1_36merge_oddeven_config_static_selectorELNS0_4arch9wavefront6targetE1EEEvSN_
    .private_segment_fixed_size: 0
    .sgpr_count:     6
    .sgpr_spill_count: 0
    .symbol:         _ZN7rocprim17ROCPRIM_400000_NS6detail17trampoline_kernelINS0_14default_configENS1_38merge_sort_block_merge_config_selectorIN6thrust23THRUST_200600_302600_NS5tupleIffNS6_9null_typeES8_S8_S8_S8_S8_S8_S8_EENS0_10empty_typeEEEZZNS1_27merge_sort_block_merge_implIS3_NS6_6detail15normal_iteratorINS6_10device_ptrIS9_EEEEPSA_mNS6_4lessIS9_EEEE10hipError_tT0_T1_T2_jT3_P12ihipStream_tbPNSt15iterator_traitsISM_E10value_typeEPNSS_ISN_E10value_typeEPSO_NS1_7vsmem_tEENKUlT_SM_SN_SO_E_clIPS9_SH_SI_SI_EESL_S11_SM_SN_SO_EUlS11_E1_NS1_11comp_targetILNS1_3genE0ELNS1_11target_archE4294967295ELNS1_3gpuE0ELNS1_3repE0EEENS1_36merge_oddeven_config_static_selectorELNS0_4arch9wavefront6targetE1EEEvSN_.kd
    .uniform_work_group_size: 1
    .uses_dynamic_stack: false
    .vgpr_count:     0
    .vgpr_spill_count: 0
    .wavefront_size: 64
  - .agpr_count:     0
    .args:
      - .offset:         0
        .size:           56
        .value_kind:     by_value
    .group_segment_fixed_size: 0
    .kernarg_segment_align: 8
    .kernarg_segment_size: 56
    .language:       OpenCL C
    .language_version:
      - 2
      - 0
    .max_flat_workgroup_size: 256
    .name:           _ZN7rocprim17ROCPRIM_400000_NS6detail17trampoline_kernelINS0_14default_configENS1_38merge_sort_block_merge_config_selectorIN6thrust23THRUST_200600_302600_NS5tupleIffNS6_9null_typeES8_S8_S8_S8_S8_S8_S8_EENS0_10empty_typeEEEZZNS1_27merge_sort_block_merge_implIS3_NS6_6detail15normal_iteratorINS6_10device_ptrIS9_EEEEPSA_mNS6_4lessIS9_EEEE10hipError_tT0_T1_T2_jT3_P12ihipStream_tbPNSt15iterator_traitsISM_E10value_typeEPNSS_ISN_E10value_typeEPSO_NS1_7vsmem_tEENKUlT_SM_SN_SO_E_clIPS9_SH_SI_SI_EESL_S11_SM_SN_SO_EUlS11_E1_NS1_11comp_targetILNS1_3genE10ELNS1_11target_archE1201ELNS1_3gpuE5ELNS1_3repE0EEENS1_36merge_oddeven_config_static_selectorELNS0_4arch9wavefront6targetE1EEEvSN_
    .private_segment_fixed_size: 0
    .sgpr_count:     6
    .sgpr_spill_count: 0
    .symbol:         _ZN7rocprim17ROCPRIM_400000_NS6detail17trampoline_kernelINS0_14default_configENS1_38merge_sort_block_merge_config_selectorIN6thrust23THRUST_200600_302600_NS5tupleIffNS6_9null_typeES8_S8_S8_S8_S8_S8_S8_EENS0_10empty_typeEEEZZNS1_27merge_sort_block_merge_implIS3_NS6_6detail15normal_iteratorINS6_10device_ptrIS9_EEEEPSA_mNS6_4lessIS9_EEEE10hipError_tT0_T1_T2_jT3_P12ihipStream_tbPNSt15iterator_traitsISM_E10value_typeEPNSS_ISN_E10value_typeEPSO_NS1_7vsmem_tEENKUlT_SM_SN_SO_E_clIPS9_SH_SI_SI_EESL_S11_SM_SN_SO_EUlS11_E1_NS1_11comp_targetILNS1_3genE10ELNS1_11target_archE1201ELNS1_3gpuE5ELNS1_3repE0EEENS1_36merge_oddeven_config_static_selectorELNS0_4arch9wavefront6targetE1EEEvSN_.kd
    .uniform_work_group_size: 1
    .uses_dynamic_stack: false
    .vgpr_count:     0
    .vgpr_spill_count: 0
    .wavefront_size: 64
  - .agpr_count:     0
    .args:
      - .offset:         0
        .size:           56
        .value_kind:     by_value
    .group_segment_fixed_size: 0
    .kernarg_segment_align: 8
    .kernarg_segment_size: 56
    .language:       OpenCL C
    .language_version:
      - 2
      - 0
    .max_flat_workgroup_size: 256
    .name:           _ZN7rocprim17ROCPRIM_400000_NS6detail17trampoline_kernelINS0_14default_configENS1_38merge_sort_block_merge_config_selectorIN6thrust23THRUST_200600_302600_NS5tupleIffNS6_9null_typeES8_S8_S8_S8_S8_S8_S8_EENS0_10empty_typeEEEZZNS1_27merge_sort_block_merge_implIS3_NS6_6detail15normal_iteratorINS6_10device_ptrIS9_EEEEPSA_mNS6_4lessIS9_EEEE10hipError_tT0_T1_T2_jT3_P12ihipStream_tbPNSt15iterator_traitsISM_E10value_typeEPNSS_ISN_E10value_typeEPSO_NS1_7vsmem_tEENKUlT_SM_SN_SO_E_clIPS9_SH_SI_SI_EESL_S11_SM_SN_SO_EUlS11_E1_NS1_11comp_targetILNS1_3genE5ELNS1_11target_archE942ELNS1_3gpuE9ELNS1_3repE0EEENS1_36merge_oddeven_config_static_selectorELNS0_4arch9wavefront6targetE1EEEvSN_
    .private_segment_fixed_size: 0
    .sgpr_count:     29
    .sgpr_spill_count: 0
    .symbol:         _ZN7rocprim17ROCPRIM_400000_NS6detail17trampoline_kernelINS0_14default_configENS1_38merge_sort_block_merge_config_selectorIN6thrust23THRUST_200600_302600_NS5tupleIffNS6_9null_typeES8_S8_S8_S8_S8_S8_S8_EENS0_10empty_typeEEEZZNS1_27merge_sort_block_merge_implIS3_NS6_6detail15normal_iteratorINS6_10device_ptrIS9_EEEEPSA_mNS6_4lessIS9_EEEE10hipError_tT0_T1_T2_jT3_P12ihipStream_tbPNSt15iterator_traitsISM_E10value_typeEPNSS_ISN_E10value_typeEPSO_NS1_7vsmem_tEENKUlT_SM_SN_SO_E_clIPS9_SH_SI_SI_EESL_S11_SM_SN_SO_EUlS11_E1_NS1_11comp_targetILNS1_3genE5ELNS1_11target_archE942ELNS1_3gpuE9ELNS1_3repE0EEENS1_36merge_oddeven_config_static_selectorELNS0_4arch9wavefront6targetE1EEEvSN_.kd
    .uniform_work_group_size: 1
    .uses_dynamic_stack: false
    .vgpr_count:     9
    .vgpr_spill_count: 0
    .wavefront_size: 64
  - .agpr_count:     0
    .args:
      - .offset:         0
        .size:           56
        .value_kind:     by_value
    .group_segment_fixed_size: 0
    .kernarg_segment_align: 8
    .kernarg_segment_size: 56
    .language:       OpenCL C
    .language_version:
      - 2
      - 0
    .max_flat_workgroup_size: 256
    .name:           _ZN7rocprim17ROCPRIM_400000_NS6detail17trampoline_kernelINS0_14default_configENS1_38merge_sort_block_merge_config_selectorIN6thrust23THRUST_200600_302600_NS5tupleIffNS6_9null_typeES8_S8_S8_S8_S8_S8_S8_EENS0_10empty_typeEEEZZNS1_27merge_sort_block_merge_implIS3_NS6_6detail15normal_iteratorINS6_10device_ptrIS9_EEEEPSA_mNS6_4lessIS9_EEEE10hipError_tT0_T1_T2_jT3_P12ihipStream_tbPNSt15iterator_traitsISM_E10value_typeEPNSS_ISN_E10value_typeEPSO_NS1_7vsmem_tEENKUlT_SM_SN_SO_E_clIPS9_SH_SI_SI_EESL_S11_SM_SN_SO_EUlS11_E1_NS1_11comp_targetILNS1_3genE4ELNS1_11target_archE910ELNS1_3gpuE8ELNS1_3repE0EEENS1_36merge_oddeven_config_static_selectorELNS0_4arch9wavefront6targetE1EEEvSN_
    .private_segment_fixed_size: 0
    .sgpr_count:     6
    .sgpr_spill_count: 0
    .symbol:         _ZN7rocprim17ROCPRIM_400000_NS6detail17trampoline_kernelINS0_14default_configENS1_38merge_sort_block_merge_config_selectorIN6thrust23THRUST_200600_302600_NS5tupleIffNS6_9null_typeES8_S8_S8_S8_S8_S8_S8_EENS0_10empty_typeEEEZZNS1_27merge_sort_block_merge_implIS3_NS6_6detail15normal_iteratorINS6_10device_ptrIS9_EEEEPSA_mNS6_4lessIS9_EEEE10hipError_tT0_T1_T2_jT3_P12ihipStream_tbPNSt15iterator_traitsISM_E10value_typeEPNSS_ISN_E10value_typeEPSO_NS1_7vsmem_tEENKUlT_SM_SN_SO_E_clIPS9_SH_SI_SI_EESL_S11_SM_SN_SO_EUlS11_E1_NS1_11comp_targetILNS1_3genE4ELNS1_11target_archE910ELNS1_3gpuE8ELNS1_3repE0EEENS1_36merge_oddeven_config_static_selectorELNS0_4arch9wavefront6targetE1EEEvSN_.kd
    .uniform_work_group_size: 1
    .uses_dynamic_stack: false
    .vgpr_count:     0
    .vgpr_spill_count: 0
    .wavefront_size: 64
  - .agpr_count:     0
    .args:
      - .offset:         0
        .size:           56
        .value_kind:     by_value
    .group_segment_fixed_size: 0
    .kernarg_segment_align: 8
    .kernarg_segment_size: 56
    .language:       OpenCL C
    .language_version:
      - 2
      - 0
    .max_flat_workgroup_size: 256
    .name:           _ZN7rocprim17ROCPRIM_400000_NS6detail17trampoline_kernelINS0_14default_configENS1_38merge_sort_block_merge_config_selectorIN6thrust23THRUST_200600_302600_NS5tupleIffNS6_9null_typeES8_S8_S8_S8_S8_S8_S8_EENS0_10empty_typeEEEZZNS1_27merge_sort_block_merge_implIS3_NS6_6detail15normal_iteratorINS6_10device_ptrIS9_EEEEPSA_mNS6_4lessIS9_EEEE10hipError_tT0_T1_T2_jT3_P12ihipStream_tbPNSt15iterator_traitsISM_E10value_typeEPNSS_ISN_E10value_typeEPSO_NS1_7vsmem_tEENKUlT_SM_SN_SO_E_clIPS9_SH_SI_SI_EESL_S11_SM_SN_SO_EUlS11_E1_NS1_11comp_targetILNS1_3genE3ELNS1_11target_archE908ELNS1_3gpuE7ELNS1_3repE0EEENS1_36merge_oddeven_config_static_selectorELNS0_4arch9wavefront6targetE1EEEvSN_
    .private_segment_fixed_size: 0
    .sgpr_count:     6
    .sgpr_spill_count: 0
    .symbol:         _ZN7rocprim17ROCPRIM_400000_NS6detail17trampoline_kernelINS0_14default_configENS1_38merge_sort_block_merge_config_selectorIN6thrust23THRUST_200600_302600_NS5tupleIffNS6_9null_typeES8_S8_S8_S8_S8_S8_S8_EENS0_10empty_typeEEEZZNS1_27merge_sort_block_merge_implIS3_NS6_6detail15normal_iteratorINS6_10device_ptrIS9_EEEEPSA_mNS6_4lessIS9_EEEE10hipError_tT0_T1_T2_jT3_P12ihipStream_tbPNSt15iterator_traitsISM_E10value_typeEPNSS_ISN_E10value_typeEPSO_NS1_7vsmem_tEENKUlT_SM_SN_SO_E_clIPS9_SH_SI_SI_EESL_S11_SM_SN_SO_EUlS11_E1_NS1_11comp_targetILNS1_3genE3ELNS1_11target_archE908ELNS1_3gpuE7ELNS1_3repE0EEENS1_36merge_oddeven_config_static_selectorELNS0_4arch9wavefront6targetE1EEEvSN_.kd
    .uniform_work_group_size: 1
    .uses_dynamic_stack: false
    .vgpr_count:     0
    .vgpr_spill_count: 0
    .wavefront_size: 64
  - .agpr_count:     0
    .args:
      - .offset:         0
        .size:           56
        .value_kind:     by_value
    .group_segment_fixed_size: 0
    .kernarg_segment_align: 8
    .kernarg_segment_size: 56
    .language:       OpenCL C
    .language_version:
      - 2
      - 0
    .max_flat_workgroup_size: 256
    .name:           _ZN7rocprim17ROCPRIM_400000_NS6detail17trampoline_kernelINS0_14default_configENS1_38merge_sort_block_merge_config_selectorIN6thrust23THRUST_200600_302600_NS5tupleIffNS6_9null_typeES8_S8_S8_S8_S8_S8_S8_EENS0_10empty_typeEEEZZNS1_27merge_sort_block_merge_implIS3_NS6_6detail15normal_iteratorINS6_10device_ptrIS9_EEEEPSA_mNS6_4lessIS9_EEEE10hipError_tT0_T1_T2_jT3_P12ihipStream_tbPNSt15iterator_traitsISM_E10value_typeEPNSS_ISN_E10value_typeEPSO_NS1_7vsmem_tEENKUlT_SM_SN_SO_E_clIPS9_SH_SI_SI_EESL_S11_SM_SN_SO_EUlS11_E1_NS1_11comp_targetILNS1_3genE2ELNS1_11target_archE906ELNS1_3gpuE6ELNS1_3repE0EEENS1_36merge_oddeven_config_static_selectorELNS0_4arch9wavefront6targetE1EEEvSN_
    .private_segment_fixed_size: 0
    .sgpr_count:     6
    .sgpr_spill_count: 0
    .symbol:         _ZN7rocprim17ROCPRIM_400000_NS6detail17trampoline_kernelINS0_14default_configENS1_38merge_sort_block_merge_config_selectorIN6thrust23THRUST_200600_302600_NS5tupleIffNS6_9null_typeES8_S8_S8_S8_S8_S8_S8_EENS0_10empty_typeEEEZZNS1_27merge_sort_block_merge_implIS3_NS6_6detail15normal_iteratorINS6_10device_ptrIS9_EEEEPSA_mNS6_4lessIS9_EEEE10hipError_tT0_T1_T2_jT3_P12ihipStream_tbPNSt15iterator_traitsISM_E10value_typeEPNSS_ISN_E10value_typeEPSO_NS1_7vsmem_tEENKUlT_SM_SN_SO_E_clIPS9_SH_SI_SI_EESL_S11_SM_SN_SO_EUlS11_E1_NS1_11comp_targetILNS1_3genE2ELNS1_11target_archE906ELNS1_3gpuE6ELNS1_3repE0EEENS1_36merge_oddeven_config_static_selectorELNS0_4arch9wavefront6targetE1EEEvSN_.kd
    .uniform_work_group_size: 1
    .uses_dynamic_stack: false
    .vgpr_count:     0
    .vgpr_spill_count: 0
    .wavefront_size: 64
  - .agpr_count:     0
    .args:
      - .offset:         0
        .size:           56
        .value_kind:     by_value
    .group_segment_fixed_size: 0
    .kernarg_segment_align: 8
    .kernarg_segment_size: 56
    .language:       OpenCL C
    .language_version:
      - 2
      - 0
    .max_flat_workgroup_size: 256
    .name:           _ZN7rocprim17ROCPRIM_400000_NS6detail17trampoline_kernelINS0_14default_configENS1_38merge_sort_block_merge_config_selectorIN6thrust23THRUST_200600_302600_NS5tupleIffNS6_9null_typeES8_S8_S8_S8_S8_S8_S8_EENS0_10empty_typeEEEZZNS1_27merge_sort_block_merge_implIS3_NS6_6detail15normal_iteratorINS6_10device_ptrIS9_EEEEPSA_mNS6_4lessIS9_EEEE10hipError_tT0_T1_T2_jT3_P12ihipStream_tbPNSt15iterator_traitsISM_E10value_typeEPNSS_ISN_E10value_typeEPSO_NS1_7vsmem_tEENKUlT_SM_SN_SO_E_clIPS9_SH_SI_SI_EESL_S11_SM_SN_SO_EUlS11_E1_NS1_11comp_targetILNS1_3genE9ELNS1_11target_archE1100ELNS1_3gpuE3ELNS1_3repE0EEENS1_36merge_oddeven_config_static_selectorELNS0_4arch9wavefront6targetE1EEEvSN_
    .private_segment_fixed_size: 0
    .sgpr_count:     6
    .sgpr_spill_count: 0
    .symbol:         _ZN7rocprim17ROCPRIM_400000_NS6detail17trampoline_kernelINS0_14default_configENS1_38merge_sort_block_merge_config_selectorIN6thrust23THRUST_200600_302600_NS5tupleIffNS6_9null_typeES8_S8_S8_S8_S8_S8_S8_EENS0_10empty_typeEEEZZNS1_27merge_sort_block_merge_implIS3_NS6_6detail15normal_iteratorINS6_10device_ptrIS9_EEEEPSA_mNS6_4lessIS9_EEEE10hipError_tT0_T1_T2_jT3_P12ihipStream_tbPNSt15iterator_traitsISM_E10value_typeEPNSS_ISN_E10value_typeEPSO_NS1_7vsmem_tEENKUlT_SM_SN_SO_E_clIPS9_SH_SI_SI_EESL_S11_SM_SN_SO_EUlS11_E1_NS1_11comp_targetILNS1_3genE9ELNS1_11target_archE1100ELNS1_3gpuE3ELNS1_3repE0EEENS1_36merge_oddeven_config_static_selectorELNS0_4arch9wavefront6targetE1EEEvSN_.kd
    .uniform_work_group_size: 1
    .uses_dynamic_stack: false
    .vgpr_count:     0
    .vgpr_spill_count: 0
    .wavefront_size: 64
  - .agpr_count:     0
    .args:
      - .offset:         0
        .size:           56
        .value_kind:     by_value
    .group_segment_fixed_size: 0
    .kernarg_segment_align: 8
    .kernarg_segment_size: 56
    .language:       OpenCL C
    .language_version:
      - 2
      - 0
    .max_flat_workgroup_size: 256
    .name:           _ZN7rocprim17ROCPRIM_400000_NS6detail17trampoline_kernelINS0_14default_configENS1_38merge_sort_block_merge_config_selectorIN6thrust23THRUST_200600_302600_NS5tupleIffNS6_9null_typeES8_S8_S8_S8_S8_S8_S8_EENS0_10empty_typeEEEZZNS1_27merge_sort_block_merge_implIS3_NS6_6detail15normal_iteratorINS6_10device_ptrIS9_EEEEPSA_mNS6_4lessIS9_EEEE10hipError_tT0_T1_T2_jT3_P12ihipStream_tbPNSt15iterator_traitsISM_E10value_typeEPNSS_ISN_E10value_typeEPSO_NS1_7vsmem_tEENKUlT_SM_SN_SO_E_clIPS9_SH_SI_SI_EESL_S11_SM_SN_SO_EUlS11_E1_NS1_11comp_targetILNS1_3genE8ELNS1_11target_archE1030ELNS1_3gpuE2ELNS1_3repE0EEENS1_36merge_oddeven_config_static_selectorELNS0_4arch9wavefront6targetE1EEEvSN_
    .private_segment_fixed_size: 0
    .sgpr_count:     6
    .sgpr_spill_count: 0
    .symbol:         _ZN7rocprim17ROCPRIM_400000_NS6detail17trampoline_kernelINS0_14default_configENS1_38merge_sort_block_merge_config_selectorIN6thrust23THRUST_200600_302600_NS5tupleIffNS6_9null_typeES8_S8_S8_S8_S8_S8_S8_EENS0_10empty_typeEEEZZNS1_27merge_sort_block_merge_implIS3_NS6_6detail15normal_iteratorINS6_10device_ptrIS9_EEEEPSA_mNS6_4lessIS9_EEEE10hipError_tT0_T1_T2_jT3_P12ihipStream_tbPNSt15iterator_traitsISM_E10value_typeEPNSS_ISN_E10value_typeEPSO_NS1_7vsmem_tEENKUlT_SM_SN_SO_E_clIPS9_SH_SI_SI_EESL_S11_SM_SN_SO_EUlS11_E1_NS1_11comp_targetILNS1_3genE8ELNS1_11target_archE1030ELNS1_3gpuE2ELNS1_3repE0EEENS1_36merge_oddeven_config_static_selectorELNS0_4arch9wavefront6targetE1EEEvSN_.kd
    .uniform_work_group_size: 1
    .uses_dynamic_stack: false
    .vgpr_count:     0
    .vgpr_spill_count: 0
    .wavefront_size: 64
  - .agpr_count:     0
    .args:
      - .offset:         0
        .size:           48
        .value_kind:     by_value
    .group_segment_fixed_size: 0
    .kernarg_segment_align: 8
    .kernarg_segment_size: 48
    .language:       OpenCL C
    .language_version:
      - 2
      - 0
    .max_flat_workgroup_size: 128
    .name:           _ZN7rocprim17ROCPRIM_400000_NS6detail17trampoline_kernelINS0_14default_configENS1_38merge_sort_block_merge_config_selectorIN6thrust23THRUST_200600_302600_NS5tupleIffNS6_9null_typeES8_S8_S8_S8_S8_S8_S8_EENS0_10empty_typeEEEZZNS1_27merge_sort_block_merge_implIS3_NS6_6detail15normal_iteratorINS6_10device_ptrIS9_EEEEPSA_mNS6_4lessIS9_EEEE10hipError_tT0_T1_T2_jT3_P12ihipStream_tbPNSt15iterator_traitsISM_E10value_typeEPNSS_ISN_E10value_typeEPSO_NS1_7vsmem_tEENKUlT_SM_SN_SO_E_clISH_PS9_SI_SI_EESL_S11_SM_SN_SO_EUlS11_E_NS1_11comp_targetILNS1_3genE0ELNS1_11target_archE4294967295ELNS1_3gpuE0ELNS1_3repE0EEENS1_48merge_mergepath_partition_config_static_selectorELNS0_4arch9wavefront6targetE1EEEvSN_
    .private_segment_fixed_size: 0
    .sgpr_count:     6
    .sgpr_spill_count: 0
    .symbol:         _ZN7rocprim17ROCPRIM_400000_NS6detail17trampoline_kernelINS0_14default_configENS1_38merge_sort_block_merge_config_selectorIN6thrust23THRUST_200600_302600_NS5tupleIffNS6_9null_typeES8_S8_S8_S8_S8_S8_S8_EENS0_10empty_typeEEEZZNS1_27merge_sort_block_merge_implIS3_NS6_6detail15normal_iteratorINS6_10device_ptrIS9_EEEEPSA_mNS6_4lessIS9_EEEE10hipError_tT0_T1_T2_jT3_P12ihipStream_tbPNSt15iterator_traitsISM_E10value_typeEPNSS_ISN_E10value_typeEPSO_NS1_7vsmem_tEENKUlT_SM_SN_SO_E_clISH_PS9_SI_SI_EESL_S11_SM_SN_SO_EUlS11_E_NS1_11comp_targetILNS1_3genE0ELNS1_11target_archE4294967295ELNS1_3gpuE0ELNS1_3repE0EEENS1_48merge_mergepath_partition_config_static_selectorELNS0_4arch9wavefront6targetE1EEEvSN_.kd
    .uniform_work_group_size: 1
    .uses_dynamic_stack: false
    .vgpr_count:     0
    .vgpr_spill_count: 0
    .wavefront_size: 64
  - .agpr_count:     0
    .args:
      - .offset:         0
        .size:           48
        .value_kind:     by_value
    .group_segment_fixed_size: 0
    .kernarg_segment_align: 8
    .kernarg_segment_size: 48
    .language:       OpenCL C
    .language_version:
      - 2
      - 0
    .max_flat_workgroup_size: 128
    .name:           _ZN7rocprim17ROCPRIM_400000_NS6detail17trampoline_kernelINS0_14default_configENS1_38merge_sort_block_merge_config_selectorIN6thrust23THRUST_200600_302600_NS5tupleIffNS6_9null_typeES8_S8_S8_S8_S8_S8_S8_EENS0_10empty_typeEEEZZNS1_27merge_sort_block_merge_implIS3_NS6_6detail15normal_iteratorINS6_10device_ptrIS9_EEEEPSA_mNS6_4lessIS9_EEEE10hipError_tT0_T1_T2_jT3_P12ihipStream_tbPNSt15iterator_traitsISM_E10value_typeEPNSS_ISN_E10value_typeEPSO_NS1_7vsmem_tEENKUlT_SM_SN_SO_E_clISH_PS9_SI_SI_EESL_S11_SM_SN_SO_EUlS11_E_NS1_11comp_targetILNS1_3genE10ELNS1_11target_archE1201ELNS1_3gpuE5ELNS1_3repE0EEENS1_48merge_mergepath_partition_config_static_selectorELNS0_4arch9wavefront6targetE1EEEvSN_
    .private_segment_fixed_size: 0
    .sgpr_count:     6
    .sgpr_spill_count: 0
    .symbol:         _ZN7rocprim17ROCPRIM_400000_NS6detail17trampoline_kernelINS0_14default_configENS1_38merge_sort_block_merge_config_selectorIN6thrust23THRUST_200600_302600_NS5tupleIffNS6_9null_typeES8_S8_S8_S8_S8_S8_S8_EENS0_10empty_typeEEEZZNS1_27merge_sort_block_merge_implIS3_NS6_6detail15normal_iteratorINS6_10device_ptrIS9_EEEEPSA_mNS6_4lessIS9_EEEE10hipError_tT0_T1_T2_jT3_P12ihipStream_tbPNSt15iterator_traitsISM_E10value_typeEPNSS_ISN_E10value_typeEPSO_NS1_7vsmem_tEENKUlT_SM_SN_SO_E_clISH_PS9_SI_SI_EESL_S11_SM_SN_SO_EUlS11_E_NS1_11comp_targetILNS1_3genE10ELNS1_11target_archE1201ELNS1_3gpuE5ELNS1_3repE0EEENS1_48merge_mergepath_partition_config_static_selectorELNS0_4arch9wavefront6targetE1EEEvSN_.kd
    .uniform_work_group_size: 1
    .uses_dynamic_stack: false
    .vgpr_count:     0
    .vgpr_spill_count: 0
    .wavefront_size: 64
  - .agpr_count:     0
    .args:
      - .offset:         0
        .size:           48
        .value_kind:     by_value
    .group_segment_fixed_size: 0
    .kernarg_segment_align: 8
    .kernarg_segment_size: 48
    .language:       OpenCL C
    .language_version:
      - 2
      - 0
    .max_flat_workgroup_size: 128
    .name:           _ZN7rocprim17ROCPRIM_400000_NS6detail17trampoline_kernelINS0_14default_configENS1_38merge_sort_block_merge_config_selectorIN6thrust23THRUST_200600_302600_NS5tupleIffNS6_9null_typeES8_S8_S8_S8_S8_S8_S8_EENS0_10empty_typeEEEZZNS1_27merge_sort_block_merge_implIS3_NS6_6detail15normal_iteratorINS6_10device_ptrIS9_EEEEPSA_mNS6_4lessIS9_EEEE10hipError_tT0_T1_T2_jT3_P12ihipStream_tbPNSt15iterator_traitsISM_E10value_typeEPNSS_ISN_E10value_typeEPSO_NS1_7vsmem_tEENKUlT_SM_SN_SO_E_clISH_PS9_SI_SI_EESL_S11_SM_SN_SO_EUlS11_E_NS1_11comp_targetILNS1_3genE5ELNS1_11target_archE942ELNS1_3gpuE9ELNS1_3repE0EEENS1_48merge_mergepath_partition_config_static_selectorELNS0_4arch9wavefront6targetE1EEEvSN_
    .private_segment_fixed_size: 0
    .sgpr_count:     20
    .sgpr_spill_count: 0
    .symbol:         _ZN7rocprim17ROCPRIM_400000_NS6detail17trampoline_kernelINS0_14default_configENS1_38merge_sort_block_merge_config_selectorIN6thrust23THRUST_200600_302600_NS5tupleIffNS6_9null_typeES8_S8_S8_S8_S8_S8_S8_EENS0_10empty_typeEEEZZNS1_27merge_sort_block_merge_implIS3_NS6_6detail15normal_iteratorINS6_10device_ptrIS9_EEEEPSA_mNS6_4lessIS9_EEEE10hipError_tT0_T1_T2_jT3_P12ihipStream_tbPNSt15iterator_traitsISM_E10value_typeEPNSS_ISN_E10value_typeEPSO_NS1_7vsmem_tEENKUlT_SM_SN_SO_E_clISH_PS9_SI_SI_EESL_S11_SM_SN_SO_EUlS11_E_NS1_11comp_targetILNS1_3genE5ELNS1_11target_archE942ELNS1_3gpuE9ELNS1_3repE0EEENS1_48merge_mergepath_partition_config_static_selectorELNS0_4arch9wavefront6targetE1EEEvSN_.kd
    .uniform_work_group_size: 1
    .uses_dynamic_stack: false
    .vgpr_count:     19
    .vgpr_spill_count: 0
    .wavefront_size: 64
  - .agpr_count:     0
    .args:
      - .offset:         0
        .size:           48
        .value_kind:     by_value
    .group_segment_fixed_size: 0
    .kernarg_segment_align: 8
    .kernarg_segment_size: 48
    .language:       OpenCL C
    .language_version:
      - 2
      - 0
    .max_flat_workgroup_size: 128
    .name:           _ZN7rocprim17ROCPRIM_400000_NS6detail17trampoline_kernelINS0_14default_configENS1_38merge_sort_block_merge_config_selectorIN6thrust23THRUST_200600_302600_NS5tupleIffNS6_9null_typeES8_S8_S8_S8_S8_S8_S8_EENS0_10empty_typeEEEZZNS1_27merge_sort_block_merge_implIS3_NS6_6detail15normal_iteratorINS6_10device_ptrIS9_EEEEPSA_mNS6_4lessIS9_EEEE10hipError_tT0_T1_T2_jT3_P12ihipStream_tbPNSt15iterator_traitsISM_E10value_typeEPNSS_ISN_E10value_typeEPSO_NS1_7vsmem_tEENKUlT_SM_SN_SO_E_clISH_PS9_SI_SI_EESL_S11_SM_SN_SO_EUlS11_E_NS1_11comp_targetILNS1_3genE4ELNS1_11target_archE910ELNS1_3gpuE8ELNS1_3repE0EEENS1_48merge_mergepath_partition_config_static_selectorELNS0_4arch9wavefront6targetE1EEEvSN_
    .private_segment_fixed_size: 0
    .sgpr_count:     6
    .sgpr_spill_count: 0
    .symbol:         _ZN7rocprim17ROCPRIM_400000_NS6detail17trampoline_kernelINS0_14default_configENS1_38merge_sort_block_merge_config_selectorIN6thrust23THRUST_200600_302600_NS5tupleIffNS6_9null_typeES8_S8_S8_S8_S8_S8_S8_EENS0_10empty_typeEEEZZNS1_27merge_sort_block_merge_implIS3_NS6_6detail15normal_iteratorINS6_10device_ptrIS9_EEEEPSA_mNS6_4lessIS9_EEEE10hipError_tT0_T1_T2_jT3_P12ihipStream_tbPNSt15iterator_traitsISM_E10value_typeEPNSS_ISN_E10value_typeEPSO_NS1_7vsmem_tEENKUlT_SM_SN_SO_E_clISH_PS9_SI_SI_EESL_S11_SM_SN_SO_EUlS11_E_NS1_11comp_targetILNS1_3genE4ELNS1_11target_archE910ELNS1_3gpuE8ELNS1_3repE0EEENS1_48merge_mergepath_partition_config_static_selectorELNS0_4arch9wavefront6targetE1EEEvSN_.kd
    .uniform_work_group_size: 1
    .uses_dynamic_stack: false
    .vgpr_count:     0
    .vgpr_spill_count: 0
    .wavefront_size: 64
  - .agpr_count:     0
    .args:
      - .offset:         0
        .size:           48
        .value_kind:     by_value
    .group_segment_fixed_size: 0
    .kernarg_segment_align: 8
    .kernarg_segment_size: 48
    .language:       OpenCL C
    .language_version:
      - 2
      - 0
    .max_flat_workgroup_size: 128
    .name:           _ZN7rocprim17ROCPRIM_400000_NS6detail17trampoline_kernelINS0_14default_configENS1_38merge_sort_block_merge_config_selectorIN6thrust23THRUST_200600_302600_NS5tupleIffNS6_9null_typeES8_S8_S8_S8_S8_S8_S8_EENS0_10empty_typeEEEZZNS1_27merge_sort_block_merge_implIS3_NS6_6detail15normal_iteratorINS6_10device_ptrIS9_EEEEPSA_mNS6_4lessIS9_EEEE10hipError_tT0_T1_T2_jT3_P12ihipStream_tbPNSt15iterator_traitsISM_E10value_typeEPNSS_ISN_E10value_typeEPSO_NS1_7vsmem_tEENKUlT_SM_SN_SO_E_clISH_PS9_SI_SI_EESL_S11_SM_SN_SO_EUlS11_E_NS1_11comp_targetILNS1_3genE3ELNS1_11target_archE908ELNS1_3gpuE7ELNS1_3repE0EEENS1_48merge_mergepath_partition_config_static_selectorELNS0_4arch9wavefront6targetE1EEEvSN_
    .private_segment_fixed_size: 0
    .sgpr_count:     6
    .sgpr_spill_count: 0
    .symbol:         _ZN7rocprim17ROCPRIM_400000_NS6detail17trampoline_kernelINS0_14default_configENS1_38merge_sort_block_merge_config_selectorIN6thrust23THRUST_200600_302600_NS5tupleIffNS6_9null_typeES8_S8_S8_S8_S8_S8_S8_EENS0_10empty_typeEEEZZNS1_27merge_sort_block_merge_implIS3_NS6_6detail15normal_iteratorINS6_10device_ptrIS9_EEEEPSA_mNS6_4lessIS9_EEEE10hipError_tT0_T1_T2_jT3_P12ihipStream_tbPNSt15iterator_traitsISM_E10value_typeEPNSS_ISN_E10value_typeEPSO_NS1_7vsmem_tEENKUlT_SM_SN_SO_E_clISH_PS9_SI_SI_EESL_S11_SM_SN_SO_EUlS11_E_NS1_11comp_targetILNS1_3genE3ELNS1_11target_archE908ELNS1_3gpuE7ELNS1_3repE0EEENS1_48merge_mergepath_partition_config_static_selectorELNS0_4arch9wavefront6targetE1EEEvSN_.kd
    .uniform_work_group_size: 1
    .uses_dynamic_stack: false
    .vgpr_count:     0
    .vgpr_spill_count: 0
    .wavefront_size: 64
  - .agpr_count:     0
    .args:
      - .offset:         0
        .size:           48
        .value_kind:     by_value
    .group_segment_fixed_size: 0
    .kernarg_segment_align: 8
    .kernarg_segment_size: 48
    .language:       OpenCL C
    .language_version:
      - 2
      - 0
    .max_flat_workgroup_size: 128
    .name:           _ZN7rocprim17ROCPRIM_400000_NS6detail17trampoline_kernelINS0_14default_configENS1_38merge_sort_block_merge_config_selectorIN6thrust23THRUST_200600_302600_NS5tupleIffNS6_9null_typeES8_S8_S8_S8_S8_S8_S8_EENS0_10empty_typeEEEZZNS1_27merge_sort_block_merge_implIS3_NS6_6detail15normal_iteratorINS6_10device_ptrIS9_EEEEPSA_mNS6_4lessIS9_EEEE10hipError_tT0_T1_T2_jT3_P12ihipStream_tbPNSt15iterator_traitsISM_E10value_typeEPNSS_ISN_E10value_typeEPSO_NS1_7vsmem_tEENKUlT_SM_SN_SO_E_clISH_PS9_SI_SI_EESL_S11_SM_SN_SO_EUlS11_E_NS1_11comp_targetILNS1_3genE2ELNS1_11target_archE906ELNS1_3gpuE6ELNS1_3repE0EEENS1_48merge_mergepath_partition_config_static_selectorELNS0_4arch9wavefront6targetE1EEEvSN_
    .private_segment_fixed_size: 0
    .sgpr_count:     6
    .sgpr_spill_count: 0
    .symbol:         _ZN7rocprim17ROCPRIM_400000_NS6detail17trampoline_kernelINS0_14default_configENS1_38merge_sort_block_merge_config_selectorIN6thrust23THRUST_200600_302600_NS5tupleIffNS6_9null_typeES8_S8_S8_S8_S8_S8_S8_EENS0_10empty_typeEEEZZNS1_27merge_sort_block_merge_implIS3_NS6_6detail15normal_iteratorINS6_10device_ptrIS9_EEEEPSA_mNS6_4lessIS9_EEEE10hipError_tT0_T1_T2_jT3_P12ihipStream_tbPNSt15iterator_traitsISM_E10value_typeEPNSS_ISN_E10value_typeEPSO_NS1_7vsmem_tEENKUlT_SM_SN_SO_E_clISH_PS9_SI_SI_EESL_S11_SM_SN_SO_EUlS11_E_NS1_11comp_targetILNS1_3genE2ELNS1_11target_archE906ELNS1_3gpuE6ELNS1_3repE0EEENS1_48merge_mergepath_partition_config_static_selectorELNS0_4arch9wavefront6targetE1EEEvSN_.kd
    .uniform_work_group_size: 1
    .uses_dynamic_stack: false
    .vgpr_count:     0
    .vgpr_spill_count: 0
    .wavefront_size: 64
  - .agpr_count:     0
    .args:
      - .offset:         0
        .size:           48
        .value_kind:     by_value
    .group_segment_fixed_size: 0
    .kernarg_segment_align: 8
    .kernarg_segment_size: 48
    .language:       OpenCL C
    .language_version:
      - 2
      - 0
    .max_flat_workgroup_size: 128
    .name:           _ZN7rocprim17ROCPRIM_400000_NS6detail17trampoline_kernelINS0_14default_configENS1_38merge_sort_block_merge_config_selectorIN6thrust23THRUST_200600_302600_NS5tupleIffNS6_9null_typeES8_S8_S8_S8_S8_S8_S8_EENS0_10empty_typeEEEZZNS1_27merge_sort_block_merge_implIS3_NS6_6detail15normal_iteratorINS6_10device_ptrIS9_EEEEPSA_mNS6_4lessIS9_EEEE10hipError_tT0_T1_T2_jT3_P12ihipStream_tbPNSt15iterator_traitsISM_E10value_typeEPNSS_ISN_E10value_typeEPSO_NS1_7vsmem_tEENKUlT_SM_SN_SO_E_clISH_PS9_SI_SI_EESL_S11_SM_SN_SO_EUlS11_E_NS1_11comp_targetILNS1_3genE9ELNS1_11target_archE1100ELNS1_3gpuE3ELNS1_3repE0EEENS1_48merge_mergepath_partition_config_static_selectorELNS0_4arch9wavefront6targetE1EEEvSN_
    .private_segment_fixed_size: 0
    .sgpr_count:     6
    .sgpr_spill_count: 0
    .symbol:         _ZN7rocprim17ROCPRIM_400000_NS6detail17trampoline_kernelINS0_14default_configENS1_38merge_sort_block_merge_config_selectorIN6thrust23THRUST_200600_302600_NS5tupleIffNS6_9null_typeES8_S8_S8_S8_S8_S8_S8_EENS0_10empty_typeEEEZZNS1_27merge_sort_block_merge_implIS3_NS6_6detail15normal_iteratorINS6_10device_ptrIS9_EEEEPSA_mNS6_4lessIS9_EEEE10hipError_tT0_T1_T2_jT3_P12ihipStream_tbPNSt15iterator_traitsISM_E10value_typeEPNSS_ISN_E10value_typeEPSO_NS1_7vsmem_tEENKUlT_SM_SN_SO_E_clISH_PS9_SI_SI_EESL_S11_SM_SN_SO_EUlS11_E_NS1_11comp_targetILNS1_3genE9ELNS1_11target_archE1100ELNS1_3gpuE3ELNS1_3repE0EEENS1_48merge_mergepath_partition_config_static_selectorELNS0_4arch9wavefront6targetE1EEEvSN_.kd
    .uniform_work_group_size: 1
    .uses_dynamic_stack: false
    .vgpr_count:     0
    .vgpr_spill_count: 0
    .wavefront_size: 64
  - .agpr_count:     0
    .args:
      - .offset:         0
        .size:           48
        .value_kind:     by_value
    .group_segment_fixed_size: 0
    .kernarg_segment_align: 8
    .kernarg_segment_size: 48
    .language:       OpenCL C
    .language_version:
      - 2
      - 0
    .max_flat_workgroup_size: 128
    .name:           _ZN7rocprim17ROCPRIM_400000_NS6detail17trampoline_kernelINS0_14default_configENS1_38merge_sort_block_merge_config_selectorIN6thrust23THRUST_200600_302600_NS5tupleIffNS6_9null_typeES8_S8_S8_S8_S8_S8_S8_EENS0_10empty_typeEEEZZNS1_27merge_sort_block_merge_implIS3_NS6_6detail15normal_iteratorINS6_10device_ptrIS9_EEEEPSA_mNS6_4lessIS9_EEEE10hipError_tT0_T1_T2_jT3_P12ihipStream_tbPNSt15iterator_traitsISM_E10value_typeEPNSS_ISN_E10value_typeEPSO_NS1_7vsmem_tEENKUlT_SM_SN_SO_E_clISH_PS9_SI_SI_EESL_S11_SM_SN_SO_EUlS11_E_NS1_11comp_targetILNS1_3genE8ELNS1_11target_archE1030ELNS1_3gpuE2ELNS1_3repE0EEENS1_48merge_mergepath_partition_config_static_selectorELNS0_4arch9wavefront6targetE1EEEvSN_
    .private_segment_fixed_size: 0
    .sgpr_count:     6
    .sgpr_spill_count: 0
    .symbol:         _ZN7rocprim17ROCPRIM_400000_NS6detail17trampoline_kernelINS0_14default_configENS1_38merge_sort_block_merge_config_selectorIN6thrust23THRUST_200600_302600_NS5tupleIffNS6_9null_typeES8_S8_S8_S8_S8_S8_S8_EENS0_10empty_typeEEEZZNS1_27merge_sort_block_merge_implIS3_NS6_6detail15normal_iteratorINS6_10device_ptrIS9_EEEEPSA_mNS6_4lessIS9_EEEE10hipError_tT0_T1_T2_jT3_P12ihipStream_tbPNSt15iterator_traitsISM_E10value_typeEPNSS_ISN_E10value_typeEPSO_NS1_7vsmem_tEENKUlT_SM_SN_SO_E_clISH_PS9_SI_SI_EESL_S11_SM_SN_SO_EUlS11_E_NS1_11comp_targetILNS1_3genE8ELNS1_11target_archE1030ELNS1_3gpuE2ELNS1_3repE0EEENS1_48merge_mergepath_partition_config_static_selectorELNS0_4arch9wavefront6targetE1EEEvSN_.kd
    .uniform_work_group_size: 1
    .uses_dynamic_stack: false
    .vgpr_count:     0
    .vgpr_spill_count: 0
    .wavefront_size: 64
  - .agpr_count:     0
    .args:
      - .offset:         0
        .size:           72
        .value_kind:     by_value
    .group_segment_fixed_size: 0
    .kernarg_segment_align: 8
    .kernarg_segment_size: 72
    .language:       OpenCL C
    .language_version:
      - 2
      - 0
    .max_flat_workgroup_size: 128
    .name:           _ZN7rocprim17ROCPRIM_400000_NS6detail17trampoline_kernelINS0_14default_configENS1_38merge_sort_block_merge_config_selectorIN6thrust23THRUST_200600_302600_NS5tupleIffNS6_9null_typeES8_S8_S8_S8_S8_S8_S8_EENS0_10empty_typeEEEZZNS1_27merge_sort_block_merge_implIS3_NS6_6detail15normal_iteratorINS6_10device_ptrIS9_EEEEPSA_mNS6_4lessIS9_EEEE10hipError_tT0_T1_T2_jT3_P12ihipStream_tbPNSt15iterator_traitsISM_E10value_typeEPNSS_ISN_E10value_typeEPSO_NS1_7vsmem_tEENKUlT_SM_SN_SO_E_clISH_PS9_SI_SI_EESL_S11_SM_SN_SO_EUlS11_E0_NS1_11comp_targetILNS1_3genE0ELNS1_11target_archE4294967295ELNS1_3gpuE0ELNS1_3repE0EEENS1_38merge_mergepath_config_static_selectorELNS0_4arch9wavefront6targetE1EEEvSN_
    .private_segment_fixed_size: 0
    .sgpr_count:     6
    .sgpr_spill_count: 0
    .symbol:         _ZN7rocprim17ROCPRIM_400000_NS6detail17trampoline_kernelINS0_14default_configENS1_38merge_sort_block_merge_config_selectorIN6thrust23THRUST_200600_302600_NS5tupleIffNS6_9null_typeES8_S8_S8_S8_S8_S8_S8_EENS0_10empty_typeEEEZZNS1_27merge_sort_block_merge_implIS3_NS6_6detail15normal_iteratorINS6_10device_ptrIS9_EEEEPSA_mNS6_4lessIS9_EEEE10hipError_tT0_T1_T2_jT3_P12ihipStream_tbPNSt15iterator_traitsISM_E10value_typeEPNSS_ISN_E10value_typeEPSO_NS1_7vsmem_tEENKUlT_SM_SN_SO_E_clISH_PS9_SI_SI_EESL_S11_SM_SN_SO_EUlS11_E0_NS1_11comp_targetILNS1_3genE0ELNS1_11target_archE4294967295ELNS1_3gpuE0ELNS1_3repE0EEENS1_38merge_mergepath_config_static_selectorELNS0_4arch9wavefront6targetE1EEEvSN_.kd
    .uniform_work_group_size: 1
    .uses_dynamic_stack: false
    .vgpr_count:     0
    .vgpr_spill_count: 0
    .wavefront_size: 64
  - .agpr_count:     0
    .args:
      - .offset:         0
        .size:           72
        .value_kind:     by_value
    .group_segment_fixed_size: 0
    .kernarg_segment_align: 8
    .kernarg_segment_size: 72
    .language:       OpenCL C
    .language_version:
      - 2
      - 0
    .max_flat_workgroup_size: 512
    .name:           _ZN7rocprim17ROCPRIM_400000_NS6detail17trampoline_kernelINS0_14default_configENS1_38merge_sort_block_merge_config_selectorIN6thrust23THRUST_200600_302600_NS5tupleIffNS6_9null_typeES8_S8_S8_S8_S8_S8_S8_EENS0_10empty_typeEEEZZNS1_27merge_sort_block_merge_implIS3_NS6_6detail15normal_iteratorINS6_10device_ptrIS9_EEEEPSA_mNS6_4lessIS9_EEEE10hipError_tT0_T1_T2_jT3_P12ihipStream_tbPNSt15iterator_traitsISM_E10value_typeEPNSS_ISN_E10value_typeEPSO_NS1_7vsmem_tEENKUlT_SM_SN_SO_E_clISH_PS9_SI_SI_EESL_S11_SM_SN_SO_EUlS11_E0_NS1_11comp_targetILNS1_3genE10ELNS1_11target_archE1201ELNS1_3gpuE5ELNS1_3repE0EEENS1_38merge_mergepath_config_static_selectorELNS0_4arch9wavefront6targetE1EEEvSN_
    .private_segment_fixed_size: 0
    .sgpr_count:     6
    .sgpr_spill_count: 0
    .symbol:         _ZN7rocprim17ROCPRIM_400000_NS6detail17trampoline_kernelINS0_14default_configENS1_38merge_sort_block_merge_config_selectorIN6thrust23THRUST_200600_302600_NS5tupleIffNS6_9null_typeES8_S8_S8_S8_S8_S8_S8_EENS0_10empty_typeEEEZZNS1_27merge_sort_block_merge_implIS3_NS6_6detail15normal_iteratorINS6_10device_ptrIS9_EEEEPSA_mNS6_4lessIS9_EEEE10hipError_tT0_T1_T2_jT3_P12ihipStream_tbPNSt15iterator_traitsISM_E10value_typeEPNSS_ISN_E10value_typeEPSO_NS1_7vsmem_tEENKUlT_SM_SN_SO_E_clISH_PS9_SI_SI_EESL_S11_SM_SN_SO_EUlS11_E0_NS1_11comp_targetILNS1_3genE10ELNS1_11target_archE1201ELNS1_3gpuE5ELNS1_3repE0EEENS1_38merge_mergepath_config_static_selectorELNS0_4arch9wavefront6targetE1EEEvSN_.kd
    .uniform_work_group_size: 1
    .uses_dynamic_stack: false
    .vgpr_count:     0
    .vgpr_spill_count: 0
    .wavefront_size: 64
  - .agpr_count:     0
    .args:
      - .offset:         0
        .size:           72
        .value_kind:     by_value
      - .offset:         72
        .size:           4
        .value_kind:     hidden_block_count_x
      - .offset:         76
        .size:           4
        .value_kind:     hidden_block_count_y
      - .offset:         80
        .size:           4
        .value_kind:     hidden_block_count_z
      - .offset:         84
        .size:           2
        .value_kind:     hidden_group_size_x
      - .offset:         86
        .size:           2
        .value_kind:     hidden_group_size_y
      - .offset:         88
        .size:           2
        .value_kind:     hidden_group_size_z
      - .offset:         90
        .size:           2
        .value_kind:     hidden_remainder_x
      - .offset:         92
        .size:           2
        .value_kind:     hidden_remainder_y
      - .offset:         94
        .size:           2
        .value_kind:     hidden_remainder_z
      - .offset:         112
        .size:           8
        .value_kind:     hidden_global_offset_x
      - .offset:         120
        .size:           8
        .value_kind:     hidden_global_offset_y
      - .offset:         128
        .size:           8
        .value_kind:     hidden_global_offset_z
      - .offset:         136
        .size:           2
        .value_kind:     hidden_grid_dims
    .group_segment_fixed_size: 8448
    .kernarg_segment_align: 8
    .kernarg_segment_size: 328
    .language:       OpenCL C
    .language_version:
      - 2
      - 0
    .max_flat_workgroup_size: 128
    .name:           _ZN7rocprim17ROCPRIM_400000_NS6detail17trampoline_kernelINS0_14default_configENS1_38merge_sort_block_merge_config_selectorIN6thrust23THRUST_200600_302600_NS5tupleIffNS6_9null_typeES8_S8_S8_S8_S8_S8_S8_EENS0_10empty_typeEEEZZNS1_27merge_sort_block_merge_implIS3_NS6_6detail15normal_iteratorINS6_10device_ptrIS9_EEEEPSA_mNS6_4lessIS9_EEEE10hipError_tT0_T1_T2_jT3_P12ihipStream_tbPNSt15iterator_traitsISM_E10value_typeEPNSS_ISN_E10value_typeEPSO_NS1_7vsmem_tEENKUlT_SM_SN_SO_E_clISH_PS9_SI_SI_EESL_S11_SM_SN_SO_EUlS11_E0_NS1_11comp_targetILNS1_3genE5ELNS1_11target_archE942ELNS1_3gpuE9ELNS1_3repE0EEENS1_38merge_mergepath_config_static_selectorELNS0_4arch9wavefront6targetE1EEEvSN_
    .private_segment_fixed_size: 0
    .sgpr_count:     38
    .sgpr_spill_count: 0
    .symbol:         _ZN7rocprim17ROCPRIM_400000_NS6detail17trampoline_kernelINS0_14default_configENS1_38merge_sort_block_merge_config_selectorIN6thrust23THRUST_200600_302600_NS5tupleIffNS6_9null_typeES8_S8_S8_S8_S8_S8_S8_EENS0_10empty_typeEEEZZNS1_27merge_sort_block_merge_implIS3_NS6_6detail15normal_iteratorINS6_10device_ptrIS9_EEEEPSA_mNS6_4lessIS9_EEEE10hipError_tT0_T1_T2_jT3_P12ihipStream_tbPNSt15iterator_traitsISM_E10value_typeEPNSS_ISN_E10value_typeEPSO_NS1_7vsmem_tEENKUlT_SM_SN_SO_E_clISH_PS9_SI_SI_EESL_S11_SM_SN_SO_EUlS11_E0_NS1_11comp_targetILNS1_3genE5ELNS1_11target_archE942ELNS1_3gpuE9ELNS1_3repE0EEENS1_38merge_mergepath_config_static_selectorELNS0_4arch9wavefront6targetE1EEEvSN_.kd
    .uniform_work_group_size: 1
    .uses_dynamic_stack: false
    .vgpr_count:     40
    .vgpr_spill_count: 0
    .wavefront_size: 64
  - .agpr_count:     0
    .args:
      - .offset:         0
        .size:           72
        .value_kind:     by_value
    .group_segment_fixed_size: 0
    .kernarg_segment_align: 8
    .kernarg_segment_size: 72
    .language:       OpenCL C
    .language_version:
      - 2
      - 0
    .max_flat_workgroup_size: 256
    .name:           _ZN7rocprim17ROCPRIM_400000_NS6detail17trampoline_kernelINS0_14default_configENS1_38merge_sort_block_merge_config_selectorIN6thrust23THRUST_200600_302600_NS5tupleIffNS6_9null_typeES8_S8_S8_S8_S8_S8_S8_EENS0_10empty_typeEEEZZNS1_27merge_sort_block_merge_implIS3_NS6_6detail15normal_iteratorINS6_10device_ptrIS9_EEEEPSA_mNS6_4lessIS9_EEEE10hipError_tT0_T1_T2_jT3_P12ihipStream_tbPNSt15iterator_traitsISM_E10value_typeEPNSS_ISN_E10value_typeEPSO_NS1_7vsmem_tEENKUlT_SM_SN_SO_E_clISH_PS9_SI_SI_EESL_S11_SM_SN_SO_EUlS11_E0_NS1_11comp_targetILNS1_3genE4ELNS1_11target_archE910ELNS1_3gpuE8ELNS1_3repE0EEENS1_38merge_mergepath_config_static_selectorELNS0_4arch9wavefront6targetE1EEEvSN_
    .private_segment_fixed_size: 0
    .sgpr_count:     6
    .sgpr_spill_count: 0
    .symbol:         _ZN7rocprim17ROCPRIM_400000_NS6detail17trampoline_kernelINS0_14default_configENS1_38merge_sort_block_merge_config_selectorIN6thrust23THRUST_200600_302600_NS5tupleIffNS6_9null_typeES8_S8_S8_S8_S8_S8_S8_EENS0_10empty_typeEEEZZNS1_27merge_sort_block_merge_implIS3_NS6_6detail15normal_iteratorINS6_10device_ptrIS9_EEEEPSA_mNS6_4lessIS9_EEEE10hipError_tT0_T1_T2_jT3_P12ihipStream_tbPNSt15iterator_traitsISM_E10value_typeEPNSS_ISN_E10value_typeEPSO_NS1_7vsmem_tEENKUlT_SM_SN_SO_E_clISH_PS9_SI_SI_EESL_S11_SM_SN_SO_EUlS11_E0_NS1_11comp_targetILNS1_3genE4ELNS1_11target_archE910ELNS1_3gpuE8ELNS1_3repE0EEENS1_38merge_mergepath_config_static_selectorELNS0_4arch9wavefront6targetE1EEEvSN_.kd
    .uniform_work_group_size: 1
    .uses_dynamic_stack: false
    .vgpr_count:     0
    .vgpr_spill_count: 0
    .wavefront_size: 64
  - .agpr_count:     0
    .args:
      - .offset:         0
        .size:           72
        .value_kind:     by_value
    .group_segment_fixed_size: 0
    .kernarg_segment_align: 8
    .kernarg_segment_size: 72
    .language:       OpenCL C
    .language_version:
      - 2
      - 0
    .max_flat_workgroup_size: 128
    .name:           _ZN7rocprim17ROCPRIM_400000_NS6detail17trampoline_kernelINS0_14default_configENS1_38merge_sort_block_merge_config_selectorIN6thrust23THRUST_200600_302600_NS5tupleIffNS6_9null_typeES8_S8_S8_S8_S8_S8_S8_EENS0_10empty_typeEEEZZNS1_27merge_sort_block_merge_implIS3_NS6_6detail15normal_iteratorINS6_10device_ptrIS9_EEEEPSA_mNS6_4lessIS9_EEEE10hipError_tT0_T1_T2_jT3_P12ihipStream_tbPNSt15iterator_traitsISM_E10value_typeEPNSS_ISN_E10value_typeEPSO_NS1_7vsmem_tEENKUlT_SM_SN_SO_E_clISH_PS9_SI_SI_EESL_S11_SM_SN_SO_EUlS11_E0_NS1_11comp_targetILNS1_3genE3ELNS1_11target_archE908ELNS1_3gpuE7ELNS1_3repE0EEENS1_38merge_mergepath_config_static_selectorELNS0_4arch9wavefront6targetE1EEEvSN_
    .private_segment_fixed_size: 0
    .sgpr_count:     6
    .sgpr_spill_count: 0
    .symbol:         _ZN7rocprim17ROCPRIM_400000_NS6detail17trampoline_kernelINS0_14default_configENS1_38merge_sort_block_merge_config_selectorIN6thrust23THRUST_200600_302600_NS5tupleIffNS6_9null_typeES8_S8_S8_S8_S8_S8_S8_EENS0_10empty_typeEEEZZNS1_27merge_sort_block_merge_implIS3_NS6_6detail15normal_iteratorINS6_10device_ptrIS9_EEEEPSA_mNS6_4lessIS9_EEEE10hipError_tT0_T1_T2_jT3_P12ihipStream_tbPNSt15iterator_traitsISM_E10value_typeEPNSS_ISN_E10value_typeEPSO_NS1_7vsmem_tEENKUlT_SM_SN_SO_E_clISH_PS9_SI_SI_EESL_S11_SM_SN_SO_EUlS11_E0_NS1_11comp_targetILNS1_3genE3ELNS1_11target_archE908ELNS1_3gpuE7ELNS1_3repE0EEENS1_38merge_mergepath_config_static_selectorELNS0_4arch9wavefront6targetE1EEEvSN_.kd
    .uniform_work_group_size: 1
    .uses_dynamic_stack: false
    .vgpr_count:     0
    .vgpr_spill_count: 0
    .wavefront_size: 64
  - .agpr_count:     0
    .args:
      - .offset:         0
        .size:           72
        .value_kind:     by_value
    .group_segment_fixed_size: 0
    .kernarg_segment_align: 8
    .kernarg_segment_size: 72
    .language:       OpenCL C
    .language_version:
      - 2
      - 0
    .max_flat_workgroup_size: 256
    .name:           _ZN7rocprim17ROCPRIM_400000_NS6detail17trampoline_kernelINS0_14default_configENS1_38merge_sort_block_merge_config_selectorIN6thrust23THRUST_200600_302600_NS5tupleIffNS6_9null_typeES8_S8_S8_S8_S8_S8_S8_EENS0_10empty_typeEEEZZNS1_27merge_sort_block_merge_implIS3_NS6_6detail15normal_iteratorINS6_10device_ptrIS9_EEEEPSA_mNS6_4lessIS9_EEEE10hipError_tT0_T1_T2_jT3_P12ihipStream_tbPNSt15iterator_traitsISM_E10value_typeEPNSS_ISN_E10value_typeEPSO_NS1_7vsmem_tEENKUlT_SM_SN_SO_E_clISH_PS9_SI_SI_EESL_S11_SM_SN_SO_EUlS11_E0_NS1_11comp_targetILNS1_3genE2ELNS1_11target_archE906ELNS1_3gpuE6ELNS1_3repE0EEENS1_38merge_mergepath_config_static_selectorELNS0_4arch9wavefront6targetE1EEEvSN_
    .private_segment_fixed_size: 0
    .sgpr_count:     6
    .sgpr_spill_count: 0
    .symbol:         _ZN7rocprim17ROCPRIM_400000_NS6detail17trampoline_kernelINS0_14default_configENS1_38merge_sort_block_merge_config_selectorIN6thrust23THRUST_200600_302600_NS5tupleIffNS6_9null_typeES8_S8_S8_S8_S8_S8_S8_EENS0_10empty_typeEEEZZNS1_27merge_sort_block_merge_implIS3_NS6_6detail15normal_iteratorINS6_10device_ptrIS9_EEEEPSA_mNS6_4lessIS9_EEEE10hipError_tT0_T1_T2_jT3_P12ihipStream_tbPNSt15iterator_traitsISM_E10value_typeEPNSS_ISN_E10value_typeEPSO_NS1_7vsmem_tEENKUlT_SM_SN_SO_E_clISH_PS9_SI_SI_EESL_S11_SM_SN_SO_EUlS11_E0_NS1_11comp_targetILNS1_3genE2ELNS1_11target_archE906ELNS1_3gpuE6ELNS1_3repE0EEENS1_38merge_mergepath_config_static_selectorELNS0_4arch9wavefront6targetE1EEEvSN_.kd
    .uniform_work_group_size: 1
    .uses_dynamic_stack: false
    .vgpr_count:     0
    .vgpr_spill_count: 0
    .wavefront_size: 64
  - .agpr_count:     0
    .args:
      - .offset:         0
        .size:           72
        .value_kind:     by_value
    .group_segment_fixed_size: 0
    .kernarg_segment_align: 8
    .kernarg_segment_size: 72
    .language:       OpenCL C
    .language_version:
      - 2
      - 0
    .max_flat_workgroup_size: 512
    .name:           _ZN7rocprim17ROCPRIM_400000_NS6detail17trampoline_kernelINS0_14default_configENS1_38merge_sort_block_merge_config_selectorIN6thrust23THRUST_200600_302600_NS5tupleIffNS6_9null_typeES8_S8_S8_S8_S8_S8_S8_EENS0_10empty_typeEEEZZNS1_27merge_sort_block_merge_implIS3_NS6_6detail15normal_iteratorINS6_10device_ptrIS9_EEEEPSA_mNS6_4lessIS9_EEEE10hipError_tT0_T1_T2_jT3_P12ihipStream_tbPNSt15iterator_traitsISM_E10value_typeEPNSS_ISN_E10value_typeEPSO_NS1_7vsmem_tEENKUlT_SM_SN_SO_E_clISH_PS9_SI_SI_EESL_S11_SM_SN_SO_EUlS11_E0_NS1_11comp_targetILNS1_3genE9ELNS1_11target_archE1100ELNS1_3gpuE3ELNS1_3repE0EEENS1_38merge_mergepath_config_static_selectorELNS0_4arch9wavefront6targetE1EEEvSN_
    .private_segment_fixed_size: 0
    .sgpr_count:     6
    .sgpr_spill_count: 0
    .symbol:         _ZN7rocprim17ROCPRIM_400000_NS6detail17trampoline_kernelINS0_14default_configENS1_38merge_sort_block_merge_config_selectorIN6thrust23THRUST_200600_302600_NS5tupleIffNS6_9null_typeES8_S8_S8_S8_S8_S8_S8_EENS0_10empty_typeEEEZZNS1_27merge_sort_block_merge_implIS3_NS6_6detail15normal_iteratorINS6_10device_ptrIS9_EEEEPSA_mNS6_4lessIS9_EEEE10hipError_tT0_T1_T2_jT3_P12ihipStream_tbPNSt15iterator_traitsISM_E10value_typeEPNSS_ISN_E10value_typeEPSO_NS1_7vsmem_tEENKUlT_SM_SN_SO_E_clISH_PS9_SI_SI_EESL_S11_SM_SN_SO_EUlS11_E0_NS1_11comp_targetILNS1_3genE9ELNS1_11target_archE1100ELNS1_3gpuE3ELNS1_3repE0EEENS1_38merge_mergepath_config_static_selectorELNS0_4arch9wavefront6targetE1EEEvSN_.kd
    .uniform_work_group_size: 1
    .uses_dynamic_stack: false
    .vgpr_count:     0
    .vgpr_spill_count: 0
    .wavefront_size: 64
  - .agpr_count:     0
    .args:
      - .offset:         0
        .size:           72
        .value_kind:     by_value
    .group_segment_fixed_size: 0
    .kernarg_segment_align: 8
    .kernarg_segment_size: 72
    .language:       OpenCL C
    .language_version:
      - 2
      - 0
    .max_flat_workgroup_size: 1024
    .name:           _ZN7rocprim17ROCPRIM_400000_NS6detail17trampoline_kernelINS0_14default_configENS1_38merge_sort_block_merge_config_selectorIN6thrust23THRUST_200600_302600_NS5tupleIffNS6_9null_typeES8_S8_S8_S8_S8_S8_S8_EENS0_10empty_typeEEEZZNS1_27merge_sort_block_merge_implIS3_NS6_6detail15normal_iteratorINS6_10device_ptrIS9_EEEEPSA_mNS6_4lessIS9_EEEE10hipError_tT0_T1_T2_jT3_P12ihipStream_tbPNSt15iterator_traitsISM_E10value_typeEPNSS_ISN_E10value_typeEPSO_NS1_7vsmem_tEENKUlT_SM_SN_SO_E_clISH_PS9_SI_SI_EESL_S11_SM_SN_SO_EUlS11_E0_NS1_11comp_targetILNS1_3genE8ELNS1_11target_archE1030ELNS1_3gpuE2ELNS1_3repE0EEENS1_38merge_mergepath_config_static_selectorELNS0_4arch9wavefront6targetE1EEEvSN_
    .private_segment_fixed_size: 0
    .sgpr_count:     6
    .sgpr_spill_count: 0
    .symbol:         _ZN7rocprim17ROCPRIM_400000_NS6detail17trampoline_kernelINS0_14default_configENS1_38merge_sort_block_merge_config_selectorIN6thrust23THRUST_200600_302600_NS5tupleIffNS6_9null_typeES8_S8_S8_S8_S8_S8_S8_EENS0_10empty_typeEEEZZNS1_27merge_sort_block_merge_implIS3_NS6_6detail15normal_iteratorINS6_10device_ptrIS9_EEEEPSA_mNS6_4lessIS9_EEEE10hipError_tT0_T1_T2_jT3_P12ihipStream_tbPNSt15iterator_traitsISM_E10value_typeEPNSS_ISN_E10value_typeEPSO_NS1_7vsmem_tEENKUlT_SM_SN_SO_E_clISH_PS9_SI_SI_EESL_S11_SM_SN_SO_EUlS11_E0_NS1_11comp_targetILNS1_3genE8ELNS1_11target_archE1030ELNS1_3gpuE2ELNS1_3repE0EEENS1_38merge_mergepath_config_static_selectorELNS0_4arch9wavefront6targetE1EEEvSN_.kd
    .uniform_work_group_size: 1
    .uses_dynamic_stack: false
    .vgpr_count:     0
    .vgpr_spill_count: 0
    .wavefront_size: 64
  - .agpr_count:     0
    .args:
      - .offset:         0
        .size:           56
        .value_kind:     by_value
    .group_segment_fixed_size: 0
    .kernarg_segment_align: 8
    .kernarg_segment_size: 56
    .language:       OpenCL C
    .language_version:
      - 2
      - 0
    .max_flat_workgroup_size: 256
    .name:           _ZN7rocprim17ROCPRIM_400000_NS6detail17trampoline_kernelINS0_14default_configENS1_38merge_sort_block_merge_config_selectorIN6thrust23THRUST_200600_302600_NS5tupleIffNS6_9null_typeES8_S8_S8_S8_S8_S8_S8_EENS0_10empty_typeEEEZZNS1_27merge_sort_block_merge_implIS3_NS6_6detail15normal_iteratorINS6_10device_ptrIS9_EEEEPSA_mNS6_4lessIS9_EEEE10hipError_tT0_T1_T2_jT3_P12ihipStream_tbPNSt15iterator_traitsISM_E10value_typeEPNSS_ISN_E10value_typeEPSO_NS1_7vsmem_tEENKUlT_SM_SN_SO_E_clISH_PS9_SI_SI_EESL_S11_SM_SN_SO_EUlS11_E1_NS1_11comp_targetILNS1_3genE0ELNS1_11target_archE4294967295ELNS1_3gpuE0ELNS1_3repE0EEENS1_36merge_oddeven_config_static_selectorELNS0_4arch9wavefront6targetE1EEEvSN_
    .private_segment_fixed_size: 0
    .sgpr_count:     6
    .sgpr_spill_count: 0
    .symbol:         _ZN7rocprim17ROCPRIM_400000_NS6detail17trampoline_kernelINS0_14default_configENS1_38merge_sort_block_merge_config_selectorIN6thrust23THRUST_200600_302600_NS5tupleIffNS6_9null_typeES8_S8_S8_S8_S8_S8_S8_EENS0_10empty_typeEEEZZNS1_27merge_sort_block_merge_implIS3_NS6_6detail15normal_iteratorINS6_10device_ptrIS9_EEEEPSA_mNS6_4lessIS9_EEEE10hipError_tT0_T1_T2_jT3_P12ihipStream_tbPNSt15iterator_traitsISM_E10value_typeEPNSS_ISN_E10value_typeEPSO_NS1_7vsmem_tEENKUlT_SM_SN_SO_E_clISH_PS9_SI_SI_EESL_S11_SM_SN_SO_EUlS11_E1_NS1_11comp_targetILNS1_3genE0ELNS1_11target_archE4294967295ELNS1_3gpuE0ELNS1_3repE0EEENS1_36merge_oddeven_config_static_selectorELNS0_4arch9wavefront6targetE1EEEvSN_.kd
    .uniform_work_group_size: 1
    .uses_dynamic_stack: false
    .vgpr_count:     0
    .vgpr_spill_count: 0
    .wavefront_size: 64
  - .agpr_count:     0
    .args:
      - .offset:         0
        .size:           56
        .value_kind:     by_value
    .group_segment_fixed_size: 0
    .kernarg_segment_align: 8
    .kernarg_segment_size: 56
    .language:       OpenCL C
    .language_version:
      - 2
      - 0
    .max_flat_workgroup_size: 256
    .name:           _ZN7rocprim17ROCPRIM_400000_NS6detail17trampoline_kernelINS0_14default_configENS1_38merge_sort_block_merge_config_selectorIN6thrust23THRUST_200600_302600_NS5tupleIffNS6_9null_typeES8_S8_S8_S8_S8_S8_S8_EENS0_10empty_typeEEEZZNS1_27merge_sort_block_merge_implIS3_NS6_6detail15normal_iteratorINS6_10device_ptrIS9_EEEEPSA_mNS6_4lessIS9_EEEE10hipError_tT0_T1_T2_jT3_P12ihipStream_tbPNSt15iterator_traitsISM_E10value_typeEPNSS_ISN_E10value_typeEPSO_NS1_7vsmem_tEENKUlT_SM_SN_SO_E_clISH_PS9_SI_SI_EESL_S11_SM_SN_SO_EUlS11_E1_NS1_11comp_targetILNS1_3genE10ELNS1_11target_archE1201ELNS1_3gpuE5ELNS1_3repE0EEENS1_36merge_oddeven_config_static_selectorELNS0_4arch9wavefront6targetE1EEEvSN_
    .private_segment_fixed_size: 0
    .sgpr_count:     6
    .sgpr_spill_count: 0
    .symbol:         _ZN7rocprim17ROCPRIM_400000_NS6detail17trampoline_kernelINS0_14default_configENS1_38merge_sort_block_merge_config_selectorIN6thrust23THRUST_200600_302600_NS5tupleIffNS6_9null_typeES8_S8_S8_S8_S8_S8_S8_EENS0_10empty_typeEEEZZNS1_27merge_sort_block_merge_implIS3_NS6_6detail15normal_iteratorINS6_10device_ptrIS9_EEEEPSA_mNS6_4lessIS9_EEEE10hipError_tT0_T1_T2_jT3_P12ihipStream_tbPNSt15iterator_traitsISM_E10value_typeEPNSS_ISN_E10value_typeEPSO_NS1_7vsmem_tEENKUlT_SM_SN_SO_E_clISH_PS9_SI_SI_EESL_S11_SM_SN_SO_EUlS11_E1_NS1_11comp_targetILNS1_3genE10ELNS1_11target_archE1201ELNS1_3gpuE5ELNS1_3repE0EEENS1_36merge_oddeven_config_static_selectorELNS0_4arch9wavefront6targetE1EEEvSN_.kd
    .uniform_work_group_size: 1
    .uses_dynamic_stack: false
    .vgpr_count:     0
    .vgpr_spill_count: 0
    .wavefront_size: 64
  - .agpr_count:     0
    .args:
      - .offset:         0
        .size:           56
        .value_kind:     by_value
    .group_segment_fixed_size: 0
    .kernarg_segment_align: 8
    .kernarg_segment_size: 56
    .language:       OpenCL C
    .language_version:
      - 2
      - 0
    .max_flat_workgroup_size: 256
    .name:           _ZN7rocprim17ROCPRIM_400000_NS6detail17trampoline_kernelINS0_14default_configENS1_38merge_sort_block_merge_config_selectorIN6thrust23THRUST_200600_302600_NS5tupleIffNS6_9null_typeES8_S8_S8_S8_S8_S8_S8_EENS0_10empty_typeEEEZZNS1_27merge_sort_block_merge_implIS3_NS6_6detail15normal_iteratorINS6_10device_ptrIS9_EEEEPSA_mNS6_4lessIS9_EEEE10hipError_tT0_T1_T2_jT3_P12ihipStream_tbPNSt15iterator_traitsISM_E10value_typeEPNSS_ISN_E10value_typeEPSO_NS1_7vsmem_tEENKUlT_SM_SN_SO_E_clISH_PS9_SI_SI_EESL_S11_SM_SN_SO_EUlS11_E1_NS1_11comp_targetILNS1_3genE5ELNS1_11target_archE942ELNS1_3gpuE9ELNS1_3repE0EEENS1_36merge_oddeven_config_static_selectorELNS0_4arch9wavefront6targetE1EEEvSN_
    .private_segment_fixed_size: 0
    .sgpr_count:     29
    .sgpr_spill_count: 0
    .symbol:         _ZN7rocprim17ROCPRIM_400000_NS6detail17trampoline_kernelINS0_14default_configENS1_38merge_sort_block_merge_config_selectorIN6thrust23THRUST_200600_302600_NS5tupleIffNS6_9null_typeES8_S8_S8_S8_S8_S8_S8_EENS0_10empty_typeEEEZZNS1_27merge_sort_block_merge_implIS3_NS6_6detail15normal_iteratorINS6_10device_ptrIS9_EEEEPSA_mNS6_4lessIS9_EEEE10hipError_tT0_T1_T2_jT3_P12ihipStream_tbPNSt15iterator_traitsISM_E10value_typeEPNSS_ISN_E10value_typeEPSO_NS1_7vsmem_tEENKUlT_SM_SN_SO_E_clISH_PS9_SI_SI_EESL_S11_SM_SN_SO_EUlS11_E1_NS1_11comp_targetILNS1_3genE5ELNS1_11target_archE942ELNS1_3gpuE9ELNS1_3repE0EEENS1_36merge_oddeven_config_static_selectorELNS0_4arch9wavefront6targetE1EEEvSN_.kd
    .uniform_work_group_size: 1
    .uses_dynamic_stack: false
    .vgpr_count:     9
    .vgpr_spill_count: 0
    .wavefront_size: 64
  - .agpr_count:     0
    .args:
      - .offset:         0
        .size:           56
        .value_kind:     by_value
    .group_segment_fixed_size: 0
    .kernarg_segment_align: 8
    .kernarg_segment_size: 56
    .language:       OpenCL C
    .language_version:
      - 2
      - 0
    .max_flat_workgroup_size: 256
    .name:           _ZN7rocprim17ROCPRIM_400000_NS6detail17trampoline_kernelINS0_14default_configENS1_38merge_sort_block_merge_config_selectorIN6thrust23THRUST_200600_302600_NS5tupleIffNS6_9null_typeES8_S8_S8_S8_S8_S8_S8_EENS0_10empty_typeEEEZZNS1_27merge_sort_block_merge_implIS3_NS6_6detail15normal_iteratorINS6_10device_ptrIS9_EEEEPSA_mNS6_4lessIS9_EEEE10hipError_tT0_T1_T2_jT3_P12ihipStream_tbPNSt15iterator_traitsISM_E10value_typeEPNSS_ISN_E10value_typeEPSO_NS1_7vsmem_tEENKUlT_SM_SN_SO_E_clISH_PS9_SI_SI_EESL_S11_SM_SN_SO_EUlS11_E1_NS1_11comp_targetILNS1_3genE4ELNS1_11target_archE910ELNS1_3gpuE8ELNS1_3repE0EEENS1_36merge_oddeven_config_static_selectorELNS0_4arch9wavefront6targetE1EEEvSN_
    .private_segment_fixed_size: 0
    .sgpr_count:     6
    .sgpr_spill_count: 0
    .symbol:         _ZN7rocprim17ROCPRIM_400000_NS6detail17trampoline_kernelINS0_14default_configENS1_38merge_sort_block_merge_config_selectorIN6thrust23THRUST_200600_302600_NS5tupleIffNS6_9null_typeES8_S8_S8_S8_S8_S8_S8_EENS0_10empty_typeEEEZZNS1_27merge_sort_block_merge_implIS3_NS6_6detail15normal_iteratorINS6_10device_ptrIS9_EEEEPSA_mNS6_4lessIS9_EEEE10hipError_tT0_T1_T2_jT3_P12ihipStream_tbPNSt15iterator_traitsISM_E10value_typeEPNSS_ISN_E10value_typeEPSO_NS1_7vsmem_tEENKUlT_SM_SN_SO_E_clISH_PS9_SI_SI_EESL_S11_SM_SN_SO_EUlS11_E1_NS1_11comp_targetILNS1_3genE4ELNS1_11target_archE910ELNS1_3gpuE8ELNS1_3repE0EEENS1_36merge_oddeven_config_static_selectorELNS0_4arch9wavefront6targetE1EEEvSN_.kd
    .uniform_work_group_size: 1
    .uses_dynamic_stack: false
    .vgpr_count:     0
    .vgpr_spill_count: 0
    .wavefront_size: 64
  - .agpr_count:     0
    .args:
      - .offset:         0
        .size:           56
        .value_kind:     by_value
    .group_segment_fixed_size: 0
    .kernarg_segment_align: 8
    .kernarg_segment_size: 56
    .language:       OpenCL C
    .language_version:
      - 2
      - 0
    .max_flat_workgroup_size: 256
    .name:           _ZN7rocprim17ROCPRIM_400000_NS6detail17trampoline_kernelINS0_14default_configENS1_38merge_sort_block_merge_config_selectorIN6thrust23THRUST_200600_302600_NS5tupleIffNS6_9null_typeES8_S8_S8_S8_S8_S8_S8_EENS0_10empty_typeEEEZZNS1_27merge_sort_block_merge_implIS3_NS6_6detail15normal_iteratorINS6_10device_ptrIS9_EEEEPSA_mNS6_4lessIS9_EEEE10hipError_tT0_T1_T2_jT3_P12ihipStream_tbPNSt15iterator_traitsISM_E10value_typeEPNSS_ISN_E10value_typeEPSO_NS1_7vsmem_tEENKUlT_SM_SN_SO_E_clISH_PS9_SI_SI_EESL_S11_SM_SN_SO_EUlS11_E1_NS1_11comp_targetILNS1_3genE3ELNS1_11target_archE908ELNS1_3gpuE7ELNS1_3repE0EEENS1_36merge_oddeven_config_static_selectorELNS0_4arch9wavefront6targetE1EEEvSN_
    .private_segment_fixed_size: 0
    .sgpr_count:     6
    .sgpr_spill_count: 0
    .symbol:         _ZN7rocprim17ROCPRIM_400000_NS6detail17trampoline_kernelINS0_14default_configENS1_38merge_sort_block_merge_config_selectorIN6thrust23THRUST_200600_302600_NS5tupleIffNS6_9null_typeES8_S8_S8_S8_S8_S8_S8_EENS0_10empty_typeEEEZZNS1_27merge_sort_block_merge_implIS3_NS6_6detail15normal_iteratorINS6_10device_ptrIS9_EEEEPSA_mNS6_4lessIS9_EEEE10hipError_tT0_T1_T2_jT3_P12ihipStream_tbPNSt15iterator_traitsISM_E10value_typeEPNSS_ISN_E10value_typeEPSO_NS1_7vsmem_tEENKUlT_SM_SN_SO_E_clISH_PS9_SI_SI_EESL_S11_SM_SN_SO_EUlS11_E1_NS1_11comp_targetILNS1_3genE3ELNS1_11target_archE908ELNS1_3gpuE7ELNS1_3repE0EEENS1_36merge_oddeven_config_static_selectorELNS0_4arch9wavefront6targetE1EEEvSN_.kd
    .uniform_work_group_size: 1
    .uses_dynamic_stack: false
    .vgpr_count:     0
    .vgpr_spill_count: 0
    .wavefront_size: 64
  - .agpr_count:     0
    .args:
      - .offset:         0
        .size:           56
        .value_kind:     by_value
    .group_segment_fixed_size: 0
    .kernarg_segment_align: 8
    .kernarg_segment_size: 56
    .language:       OpenCL C
    .language_version:
      - 2
      - 0
    .max_flat_workgroup_size: 256
    .name:           _ZN7rocprim17ROCPRIM_400000_NS6detail17trampoline_kernelINS0_14default_configENS1_38merge_sort_block_merge_config_selectorIN6thrust23THRUST_200600_302600_NS5tupleIffNS6_9null_typeES8_S8_S8_S8_S8_S8_S8_EENS0_10empty_typeEEEZZNS1_27merge_sort_block_merge_implIS3_NS6_6detail15normal_iteratorINS6_10device_ptrIS9_EEEEPSA_mNS6_4lessIS9_EEEE10hipError_tT0_T1_T2_jT3_P12ihipStream_tbPNSt15iterator_traitsISM_E10value_typeEPNSS_ISN_E10value_typeEPSO_NS1_7vsmem_tEENKUlT_SM_SN_SO_E_clISH_PS9_SI_SI_EESL_S11_SM_SN_SO_EUlS11_E1_NS1_11comp_targetILNS1_3genE2ELNS1_11target_archE906ELNS1_3gpuE6ELNS1_3repE0EEENS1_36merge_oddeven_config_static_selectorELNS0_4arch9wavefront6targetE1EEEvSN_
    .private_segment_fixed_size: 0
    .sgpr_count:     6
    .sgpr_spill_count: 0
    .symbol:         _ZN7rocprim17ROCPRIM_400000_NS6detail17trampoline_kernelINS0_14default_configENS1_38merge_sort_block_merge_config_selectorIN6thrust23THRUST_200600_302600_NS5tupleIffNS6_9null_typeES8_S8_S8_S8_S8_S8_S8_EENS0_10empty_typeEEEZZNS1_27merge_sort_block_merge_implIS3_NS6_6detail15normal_iteratorINS6_10device_ptrIS9_EEEEPSA_mNS6_4lessIS9_EEEE10hipError_tT0_T1_T2_jT3_P12ihipStream_tbPNSt15iterator_traitsISM_E10value_typeEPNSS_ISN_E10value_typeEPSO_NS1_7vsmem_tEENKUlT_SM_SN_SO_E_clISH_PS9_SI_SI_EESL_S11_SM_SN_SO_EUlS11_E1_NS1_11comp_targetILNS1_3genE2ELNS1_11target_archE906ELNS1_3gpuE6ELNS1_3repE0EEENS1_36merge_oddeven_config_static_selectorELNS0_4arch9wavefront6targetE1EEEvSN_.kd
    .uniform_work_group_size: 1
    .uses_dynamic_stack: false
    .vgpr_count:     0
    .vgpr_spill_count: 0
    .wavefront_size: 64
  - .agpr_count:     0
    .args:
      - .offset:         0
        .size:           56
        .value_kind:     by_value
    .group_segment_fixed_size: 0
    .kernarg_segment_align: 8
    .kernarg_segment_size: 56
    .language:       OpenCL C
    .language_version:
      - 2
      - 0
    .max_flat_workgroup_size: 256
    .name:           _ZN7rocprim17ROCPRIM_400000_NS6detail17trampoline_kernelINS0_14default_configENS1_38merge_sort_block_merge_config_selectorIN6thrust23THRUST_200600_302600_NS5tupleIffNS6_9null_typeES8_S8_S8_S8_S8_S8_S8_EENS0_10empty_typeEEEZZNS1_27merge_sort_block_merge_implIS3_NS6_6detail15normal_iteratorINS6_10device_ptrIS9_EEEEPSA_mNS6_4lessIS9_EEEE10hipError_tT0_T1_T2_jT3_P12ihipStream_tbPNSt15iterator_traitsISM_E10value_typeEPNSS_ISN_E10value_typeEPSO_NS1_7vsmem_tEENKUlT_SM_SN_SO_E_clISH_PS9_SI_SI_EESL_S11_SM_SN_SO_EUlS11_E1_NS1_11comp_targetILNS1_3genE9ELNS1_11target_archE1100ELNS1_3gpuE3ELNS1_3repE0EEENS1_36merge_oddeven_config_static_selectorELNS0_4arch9wavefront6targetE1EEEvSN_
    .private_segment_fixed_size: 0
    .sgpr_count:     6
    .sgpr_spill_count: 0
    .symbol:         _ZN7rocprim17ROCPRIM_400000_NS6detail17trampoline_kernelINS0_14default_configENS1_38merge_sort_block_merge_config_selectorIN6thrust23THRUST_200600_302600_NS5tupleIffNS6_9null_typeES8_S8_S8_S8_S8_S8_S8_EENS0_10empty_typeEEEZZNS1_27merge_sort_block_merge_implIS3_NS6_6detail15normal_iteratorINS6_10device_ptrIS9_EEEEPSA_mNS6_4lessIS9_EEEE10hipError_tT0_T1_T2_jT3_P12ihipStream_tbPNSt15iterator_traitsISM_E10value_typeEPNSS_ISN_E10value_typeEPSO_NS1_7vsmem_tEENKUlT_SM_SN_SO_E_clISH_PS9_SI_SI_EESL_S11_SM_SN_SO_EUlS11_E1_NS1_11comp_targetILNS1_3genE9ELNS1_11target_archE1100ELNS1_3gpuE3ELNS1_3repE0EEENS1_36merge_oddeven_config_static_selectorELNS0_4arch9wavefront6targetE1EEEvSN_.kd
    .uniform_work_group_size: 1
    .uses_dynamic_stack: false
    .vgpr_count:     0
    .vgpr_spill_count: 0
    .wavefront_size: 64
  - .agpr_count:     0
    .args:
      - .offset:         0
        .size:           56
        .value_kind:     by_value
    .group_segment_fixed_size: 0
    .kernarg_segment_align: 8
    .kernarg_segment_size: 56
    .language:       OpenCL C
    .language_version:
      - 2
      - 0
    .max_flat_workgroup_size: 256
    .name:           _ZN7rocprim17ROCPRIM_400000_NS6detail17trampoline_kernelINS0_14default_configENS1_38merge_sort_block_merge_config_selectorIN6thrust23THRUST_200600_302600_NS5tupleIffNS6_9null_typeES8_S8_S8_S8_S8_S8_S8_EENS0_10empty_typeEEEZZNS1_27merge_sort_block_merge_implIS3_NS6_6detail15normal_iteratorINS6_10device_ptrIS9_EEEEPSA_mNS6_4lessIS9_EEEE10hipError_tT0_T1_T2_jT3_P12ihipStream_tbPNSt15iterator_traitsISM_E10value_typeEPNSS_ISN_E10value_typeEPSO_NS1_7vsmem_tEENKUlT_SM_SN_SO_E_clISH_PS9_SI_SI_EESL_S11_SM_SN_SO_EUlS11_E1_NS1_11comp_targetILNS1_3genE8ELNS1_11target_archE1030ELNS1_3gpuE2ELNS1_3repE0EEENS1_36merge_oddeven_config_static_selectorELNS0_4arch9wavefront6targetE1EEEvSN_
    .private_segment_fixed_size: 0
    .sgpr_count:     6
    .sgpr_spill_count: 0
    .symbol:         _ZN7rocprim17ROCPRIM_400000_NS6detail17trampoline_kernelINS0_14default_configENS1_38merge_sort_block_merge_config_selectorIN6thrust23THRUST_200600_302600_NS5tupleIffNS6_9null_typeES8_S8_S8_S8_S8_S8_S8_EENS0_10empty_typeEEEZZNS1_27merge_sort_block_merge_implIS3_NS6_6detail15normal_iteratorINS6_10device_ptrIS9_EEEEPSA_mNS6_4lessIS9_EEEE10hipError_tT0_T1_T2_jT3_P12ihipStream_tbPNSt15iterator_traitsISM_E10value_typeEPNSS_ISN_E10value_typeEPSO_NS1_7vsmem_tEENKUlT_SM_SN_SO_E_clISH_PS9_SI_SI_EESL_S11_SM_SN_SO_EUlS11_E1_NS1_11comp_targetILNS1_3genE8ELNS1_11target_archE1030ELNS1_3gpuE2ELNS1_3repE0EEENS1_36merge_oddeven_config_static_selectorELNS0_4arch9wavefront6targetE1EEEvSN_.kd
    .uniform_work_group_size: 1
    .uses_dynamic_stack: false
    .vgpr_count:     0
    .vgpr_spill_count: 0
    .wavefront_size: 64
  - .agpr_count:     0
    .args:
      - .offset:         0
        .size:           40
        .value_kind:     by_value
    .group_segment_fixed_size: 0
    .kernarg_segment_align: 8
    .kernarg_segment_size: 40
    .language:       OpenCL C
    .language_version:
      - 2
      - 0
    .max_flat_workgroup_size: 128
    .name:           _ZN7rocprim17ROCPRIM_400000_NS6detail17trampoline_kernelINS0_14default_configENS1_25transform_config_selectorIN6thrust23THRUST_200600_302600_NS5tupleIffNS6_9null_typeES8_S8_S8_S8_S8_S8_S8_EELb0EEEZNS1_14transform_implILb0ES3_SA_PS9_NS6_6detail15normal_iteratorINS6_10device_ptrIS9_EEEENS0_8identityIS9_EEEE10hipError_tT2_T3_mT4_P12ihipStream_tbEUlT_E_NS1_11comp_targetILNS1_3genE0ELNS1_11target_archE4294967295ELNS1_3gpuE0ELNS1_3repE0EEENS1_30default_config_static_selectorELNS0_4arch9wavefront6targetE1EEEvT1_
    .private_segment_fixed_size: 0
    .sgpr_count:     6
    .sgpr_spill_count: 0
    .symbol:         _ZN7rocprim17ROCPRIM_400000_NS6detail17trampoline_kernelINS0_14default_configENS1_25transform_config_selectorIN6thrust23THRUST_200600_302600_NS5tupleIffNS6_9null_typeES8_S8_S8_S8_S8_S8_S8_EELb0EEEZNS1_14transform_implILb0ES3_SA_PS9_NS6_6detail15normal_iteratorINS6_10device_ptrIS9_EEEENS0_8identityIS9_EEEE10hipError_tT2_T3_mT4_P12ihipStream_tbEUlT_E_NS1_11comp_targetILNS1_3genE0ELNS1_11target_archE4294967295ELNS1_3gpuE0ELNS1_3repE0EEENS1_30default_config_static_selectorELNS0_4arch9wavefront6targetE1EEEvT1_.kd
    .uniform_work_group_size: 1
    .uses_dynamic_stack: false
    .vgpr_count:     0
    .vgpr_spill_count: 0
    .wavefront_size: 64
  - .agpr_count:     0
    .args:
      - .offset:         0
        .size:           40
        .value_kind:     by_value
      - .offset:         40
        .size:           4
        .value_kind:     hidden_block_count_x
      - .offset:         44
        .size:           4
        .value_kind:     hidden_block_count_y
      - .offset:         48
        .size:           4
        .value_kind:     hidden_block_count_z
      - .offset:         52
        .size:           2
        .value_kind:     hidden_group_size_x
      - .offset:         54
        .size:           2
        .value_kind:     hidden_group_size_y
      - .offset:         56
        .size:           2
        .value_kind:     hidden_group_size_z
      - .offset:         58
        .size:           2
        .value_kind:     hidden_remainder_x
      - .offset:         60
        .size:           2
        .value_kind:     hidden_remainder_y
      - .offset:         62
        .size:           2
        .value_kind:     hidden_remainder_z
      - .offset:         80
        .size:           8
        .value_kind:     hidden_global_offset_x
      - .offset:         88
        .size:           8
        .value_kind:     hidden_global_offset_y
      - .offset:         96
        .size:           8
        .value_kind:     hidden_global_offset_z
      - .offset:         104
        .size:           2
        .value_kind:     hidden_grid_dims
    .group_segment_fixed_size: 0
    .kernarg_segment_align: 8
    .kernarg_segment_size: 296
    .language:       OpenCL C
    .language_version:
      - 2
      - 0
    .max_flat_workgroup_size: 512
    .name:           _ZN7rocprim17ROCPRIM_400000_NS6detail17trampoline_kernelINS0_14default_configENS1_25transform_config_selectorIN6thrust23THRUST_200600_302600_NS5tupleIffNS6_9null_typeES8_S8_S8_S8_S8_S8_S8_EELb0EEEZNS1_14transform_implILb0ES3_SA_PS9_NS6_6detail15normal_iteratorINS6_10device_ptrIS9_EEEENS0_8identityIS9_EEEE10hipError_tT2_T3_mT4_P12ihipStream_tbEUlT_E_NS1_11comp_targetILNS1_3genE5ELNS1_11target_archE942ELNS1_3gpuE9ELNS1_3repE0EEENS1_30default_config_static_selectorELNS0_4arch9wavefront6targetE1EEEvT1_
    .private_segment_fixed_size: 0
    .sgpr_count:     18
    .sgpr_spill_count: 0
    .symbol:         _ZN7rocprim17ROCPRIM_400000_NS6detail17trampoline_kernelINS0_14default_configENS1_25transform_config_selectorIN6thrust23THRUST_200600_302600_NS5tupleIffNS6_9null_typeES8_S8_S8_S8_S8_S8_S8_EELb0EEEZNS1_14transform_implILb0ES3_SA_PS9_NS6_6detail15normal_iteratorINS6_10device_ptrIS9_EEEENS0_8identityIS9_EEEE10hipError_tT2_T3_mT4_P12ihipStream_tbEUlT_E_NS1_11comp_targetILNS1_3genE5ELNS1_11target_archE942ELNS1_3gpuE9ELNS1_3repE0EEENS1_30default_config_static_selectorELNS0_4arch9wavefront6targetE1EEEvT1_.kd
    .uniform_work_group_size: 1
    .uses_dynamic_stack: false
    .vgpr_count:     12
    .vgpr_spill_count: 0
    .wavefront_size: 64
  - .agpr_count:     0
    .args:
      - .offset:         0
        .size:           40
        .value_kind:     by_value
    .group_segment_fixed_size: 0
    .kernarg_segment_align: 8
    .kernarg_segment_size: 40
    .language:       OpenCL C
    .language_version:
      - 2
      - 0
    .max_flat_workgroup_size: 256
    .name:           _ZN7rocprim17ROCPRIM_400000_NS6detail17trampoline_kernelINS0_14default_configENS1_25transform_config_selectorIN6thrust23THRUST_200600_302600_NS5tupleIffNS6_9null_typeES8_S8_S8_S8_S8_S8_S8_EELb0EEEZNS1_14transform_implILb0ES3_SA_PS9_NS6_6detail15normal_iteratorINS6_10device_ptrIS9_EEEENS0_8identityIS9_EEEE10hipError_tT2_T3_mT4_P12ihipStream_tbEUlT_E_NS1_11comp_targetILNS1_3genE4ELNS1_11target_archE910ELNS1_3gpuE8ELNS1_3repE0EEENS1_30default_config_static_selectorELNS0_4arch9wavefront6targetE1EEEvT1_
    .private_segment_fixed_size: 0
    .sgpr_count:     6
    .sgpr_spill_count: 0
    .symbol:         _ZN7rocprim17ROCPRIM_400000_NS6detail17trampoline_kernelINS0_14default_configENS1_25transform_config_selectorIN6thrust23THRUST_200600_302600_NS5tupleIffNS6_9null_typeES8_S8_S8_S8_S8_S8_S8_EELb0EEEZNS1_14transform_implILb0ES3_SA_PS9_NS6_6detail15normal_iteratorINS6_10device_ptrIS9_EEEENS0_8identityIS9_EEEE10hipError_tT2_T3_mT4_P12ihipStream_tbEUlT_E_NS1_11comp_targetILNS1_3genE4ELNS1_11target_archE910ELNS1_3gpuE8ELNS1_3repE0EEENS1_30default_config_static_selectorELNS0_4arch9wavefront6targetE1EEEvT1_.kd
    .uniform_work_group_size: 1
    .uses_dynamic_stack: false
    .vgpr_count:     0
    .vgpr_spill_count: 0
    .wavefront_size: 64
  - .agpr_count:     0
    .args:
      - .offset:         0
        .size:           40
        .value_kind:     by_value
    .group_segment_fixed_size: 0
    .kernarg_segment_align: 8
    .kernarg_segment_size: 40
    .language:       OpenCL C
    .language_version:
      - 2
      - 0
    .max_flat_workgroup_size: 128
    .name:           _ZN7rocprim17ROCPRIM_400000_NS6detail17trampoline_kernelINS0_14default_configENS1_25transform_config_selectorIN6thrust23THRUST_200600_302600_NS5tupleIffNS6_9null_typeES8_S8_S8_S8_S8_S8_S8_EELb0EEEZNS1_14transform_implILb0ES3_SA_PS9_NS6_6detail15normal_iteratorINS6_10device_ptrIS9_EEEENS0_8identityIS9_EEEE10hipError_tT2_T3_mT4_P12ihipStream_tbEUlT_E_NS1_11comp_targetILNS1_3genE3ELNS1_11target_archE908ELNS1_3gpuE7ELNS1_3repE0EEENS1_30default_config_static_selectorELNS0_4arch9wavefront6targetE1EEEvT1_
    .private_segment_fixed_size: 0
    .sgpr_count:     6
    .sgpr_spill_count: 0
    .symbol:         _ZN7rocprim17ROCPRIM_400000_NS6detail17trampoline_kernelINS0_14default_configENS1_25transform_config_selectorIN6thrust23THRUST_200600_302600_NS5tupleIffNS6_9null_typeES8_S8_S8_S8_S8_S8_S8_EELb0EEEZNS1_14transform_implILb0ES3_SA_PS9_NS6_6detail15normal_iteratorINS6_10device_ptrIS9_EEEENS0_8identityIS9_EEEE10hipError_tT2_T3_mT4_P12ihipStream_tbEUlT_E_NS1_11comp_targetILNS1_3genE3ELNS1_11target_archE908ELNS1_3gpuE7ELNS1_3repE0EEENS1_30default_config_static_selectorELNS0_4arch9wavefront6targetE1EEEvT1_.kd
    .uniform_work_group_size: 1
    .uses_dynamic_stack: false
    .vgpr_count:     0
    .vgpr_spill_count: 0
    .wavefront_size: 64
  - .agpr_count:     0
    .args:
      - .offset:         0
        .size:           40
        .value_kind:     by_value
    .group_segment_fixed_size: 0
    .kernarg_segment_align: 8
    .kernarg_segment_size: 40
    .language:       OpenCL C
    .language_version:
      - 2
      - 0
    .max_flat_workgroup_size: 512
    .name:           _ZN7rocprim17ROCPRIM_400000_NS6detail17trampoline_kernelINS0_14default_configENS1_25transform_config_selectorIN6thrust23THRUST_200600_302600_NS5tupleIffNS6_9null_typeES8_S8_S8_S8_S8_S8_S8_EELb0EEEZNS1_14transform_implILb0ES3_SA_PS9_NS6_6detail15normal_iteratorINS6_10device_ptrIS9_EEEENS0_8identityIS9_EEEE10hipError_tT2_T3_mT4_P12ihipStream_tbEUlT_E_NS1_11comp_targetILNS1_3genE2ELNS1_11target_archE906ELNS1_3gpuE6ELNS1_3repE0EEENS1_30default_config_static_selectorELNS0_4arch9wavefront6targetE1EEEvT1_
    .private_segment_fixed_size: 0
    .sgpr_count:     6
    .sgpr_spill_count: 0
    .symbol:         _ZN7rocprim17ROCPRIM_400000_NS6detail17trampoline_kernelINS0_14default_configENS1_25transform_config_selectorIN6thrust23THRUST_200600_302600_NS5tupleIffNS6_9null_typeES8_S8_S8_S8_S8_S8_S8_EELb0EEEZNS1_14transform_implILb0ES3_SA_PS9_NS6_6detail15normal_iteratorINS6_10device_ptrIS9_EEEENS0_8identityIS9_EEEE10hipError_tT2_T3_mT4_P12ihipStream_tbEUlT_E_NS1_11comp_targetILNS1_3genE2ELNS1_11target_archE906ELNS1_3gpuE6ELNS1_3repE0EEENS1_30default_config_static_selectorELNS0_4arch9wavefront6targetE1EEEvT1_.kd
    .uniform_work_group_size: 1
    .uses_dynamic_stack: false
    .vgpr_count:     0
    .vgpr_spill_count: 0
    .wavefront_size: 64
  - .agpr_count:     0
    .args:
      - .offset:         0
        .size:           40
        .value_kind:     by_value
    .group_segment_fixed_size: 0
    .kernarg_segment_align: 8
    .kernarg_segment_size: 40
    .language:       OpenCL C
    .language_version:
      - 2
      - 0
    .max_flat_workgroup_size: 1024
    .name:           _ZN7rocprim17ROCPRIM_400000_NS6detail17trampoline_kernelINS0_14default_configENS1_25transform_config_selectorIN6thrust23THRUST_200600_302600_NS5tupleIffNS6_9null_typeES8_S8_S8_S8_S8_S8_S8_EELb0EEEZNS1_14transform_implILb0ES3_SA_PS9_NS6_6detail15normal_iteratorINS6_10device_ptrIS9_EEEENS0_8identityIS9_EEEE10hipError_tT2_T3_mT4_P12ihipStream_tbEUlT_E_NS1_11comp_targetILNS1_3genE10ELNS1_11target_archE1201ELNS1_3gpuE5ELNS1_3repE0EEENS1_30default_config_static_selectorELNS0_4arch9wavefront6targetE1EEEvT1_
    .private_segment_fixed_size: 0
    .sgpr_count:     6
    .sgpr_spill_count: 0
    .symbol:         _ZN7rocprim17ROCPRIM_400000_NS6detail17trampoline_kernelINS0_14default_configENS1_25transform_config_selectorIN6thrust23THRUST_200600_302600_NS5tupleIffNS6_9null_typeES8_S8_S8_S8_S8_S8_S8_EELb0EEEZNS1_14transform_implILb0ES3_SA_PS9_NS6_6detail15normal_iteratorINS6_10device_ptrIS9_EEEENS0_8identityIS9_EEEE10hipError_tT2_T3_mT4_P12ihipStream_tbEUlT_E_NS1_11comp_targetILNS1_3genE10ELNS1_11target_archE1201ELNS1_3gpuE5ELNS1_3repE0EEENS1_30default_config_static_selectorELNS0_4arch9wavefront6targetE1EEEvT1_.kd
    .uniform_work_group_size: 1
    .uses_dynamic_stack: false
    .vgpr_count:     0
    .vgpr_spill_count: 0
    .wavefront_size: 64
  - .agpr_count:     0
    .args:
      - .offset:         0
        .size:           40
        .value_kind:     by_value
    .group_segment_fixed_size: 0
    .kernarg_segment_align: 8
    .kernarg_segment_size: 40
    .language:       OpenCL C
    .language_version:
      - 2
      - 0
    .max_flat_workgroup_size: 512
    .name:           _ZN7rocprim17ROCPRIM_400000_NS6detail17trampoline_kernelINS0_14default_configENS1_25transform_config_selectorIN6thrust23THRUST_200600_302600_NS5tupleIffNS6_9null_typeES8_S8_S8_S8_S8_S8_S8_EELb0EEEZNS1_14transform_implILb0ES3_SA_PS9_NS6_6detail15normal_iteratorINS6_10device_ptrIS9_EEEENS0_8identityIS9_EEEE10hipError_tT2_T3_mT4_P12ihipStream_tbEUlT_E_NS1_11comp_targetILNS1_3genE10ELNS1_11target_archE1200ELNS1_3gpuE4ELNS1_3repE0EEENS1_30default_config_static_selectorELNS0_4arch9wavefront6targetE1EEEvT1_
    .private_segment_fixed_size: 0
    .sgpr_count:     6
    .sgpr_spill_count: 0
    .symbol:         _ZN7rocprim17ROCPRIM_400000_NS6detail17trampoline_kernelINS0_14default_configENS1_25transform_config_selectorIN6thrust23THRUST_200600_302600_NS5tupleIffNS6_9null_typeES8_S8_S8_S8_S8_S8_S8_EELb0EEEZNS1_14transform_implILb0ES3_SA_PS9_NS6_6detail15normal_iteratorINS6_10device_ptrIS9_EEEENS0_8identityIS9_EEEE10hipError_tT2_T3_mT4_P12ihipStream_tbEUlT_E_NS1_11comp_targetILNS1_3genE10ELNS1_11target_archE1200ELNS1_3gpuE4ELNS1_3repE0EEENS1_30default_config_static_selectorELNS0_4arch9wavefront6targetE1EEEvT1_.kd
    .uniform_work_group_size: 1
    .uses_dynamic_stack: false
    .vgpr_count:     0
    .vgpr_spill_count: 0
    .wavefront_size: 64
  - .agpr_count:     0
    .args:
      - .offset:         0
        .size:           40
        .value_kind:     by_value
    .group_segment_fixed_size: 0
    .kernarg_segment_align: 8
    .kernarg_segment_size: 40
    .language:       OpenCL C
    .language_version:
      - 2
      - 0
    .max_flat_workgroup_size: 512
    .name:           _ZN7rocprim17ROCPRIM_400000_NS6detail17trampoline_kernelINS0_14default_configENS1_25transform_config_selectorIN6thrust23THRUST_200600_302600_NS5tupleIffNS6_9null_typeES8_S8_S8_S8_S8_S8_S8_EELb0EEEZNS1_14transform_implILb0ES3_SA_PS9_NS6_6detail15normal_iteratorINS6_10device_ptrIS9_EEEENS0_8identityIS9_EEEE10hipError_tT2_T3_mT4_P12ihipStream_tbEUlT_E_NS1_11comp_targetILNS1_3genE9ELNS1_11target_archE1100ELNS1_3gpuE3ELNS1_3repE0EEENS1_30default_config_static_selectorELNS0_4arch9wavefront6targetE1EEEvT1_
    .private_segment_fixed_size: 0
    .sgpr_count:     6
    .sgpr_spill_count: 0
    .symbol:         _ZN7rocprim17ROCPRIM_400000_NS6detail17trampoline_kernelINS0_14default_configENS1_25transform_config_selectorIN6thrust23THRUST_200600_302600_NS5tupleIffNS6_9null_typeES8_S8_S8_S8_S8_S8_S8_EELb0EEEZNS1_14transform_implILb0ES3_SA_PS9_NS6_6detail15normal_iteratorINS6_10device_ptrIS9_EEEENS0_8identityIS9_EEEE10hipError_tT2_T3_mT4_P12ihipStream_tbEUlT_E_NS1_11comp_targetILNS1_3genE9ELNS1_11target_archE1100ELNS1_3gpuE3ELNS1_3repE0EEENS1_30default_config_static_selectorELNS0_4arch9wavefront6targetE1EEEvT1_.kd
    .uniform_work_group_size: 1
    .uses_dynamic_stack: false
    .vgpr_count:     0
    .vgpr_spill_count: 0
    .wavefront_size: 64
  - .agpr_count:     0
    .args:
      - .offset:         0
        .size:           40
        .value_kind:     by_value
    .group_segment_fixed_size: 0
    .kernarg_segment_align: 8
    .kernarg_segment_size: 40
    .language:       OpenCL C
    .language_version:
      - 2
      - 0
    .max_flat_workgroup_size: 512
    .name:           _ZN7rocprim17ROCPRIM_400000_NS6detail17trampoline_kernelINS0_14default_configENS1_25transform_config_selectorIN6thrust23THRUST_200600_302600_NS5tupleIffNS6_9null_typeES8_S8_S8_S8_S8_S8_S8_EELb0EEEZNS1_14transform_implILb0ES3_SA_PS9_NS6_6detail15normal_iteratorINS6_10device_ptrIS9_EEEENS0_8identityIS9_EEEE10hipError_tT2_T3_mT4_P12ihipStream_tbEUlT_E_NS1_11comp_targetILNS1_3genE8ELNS1_11target_archE1030ELNS1_3gpuE2ELNS1_3repE0EEENS1_30default_config_static_selectorELNS0_4arch9wavefront6targetE1EEEvT1_
    .private_segment_fixed_size: 0
    .sgpr_count:     6
    .sgpr_spill_count: 0
    .symbol:         _ZN7rocprim17ROCPRIM_400000_NS6detail17trampoline_kernelINS0_14default_configENS1_25transform_config_selectorIN6thrust23THRUST_200600_302600_NS5tupleIffNS6_9null_typeES8_S8_S8_S8_S8_S8_S8_EELb0EEEZNS1_14transform_implILb0ES3_SA_PS9_NS6_6detail15normal_iteratorINS6_10device_ptrIS9_EEEENS0_8identityIS9_EEEE10hipError_tT2_T3_mT4_P12ihipStream_tbEUlT_E_NS1_11comp_targetILNS1_3genE8ELNS1_11target_archE1030ELNS1_3gpuE2ELNS1_3repE0EEENS1_30default_config_static_selectorELNS0_4arch9wavefront6targetE1EEEvT1_.kd
    .uniform_work_group_size: 1
    .uses_dynamic_stack: false
    .vgpr_count:     0
    .vgpr_spill_count: 0
    .wavefront_size: 64
  - .agpr_count:     0
    .args:
      - .offset:         0
        .size:           40
        .value_kind:     by_value
    .group_segment_fixed_size: 0
    .kernarg_segment_align: 8
    .kernarg_segment_size: 40
    .language:       OpenCL C
    .language_version:
      - 2
      - 0
    .max_flat_workgroup_size: 128
    .name:           _ZN7rocprim17ROCPRIM_400000_NS6detail17trampoline_kernelINS0_14default_configENS1_25transform_config_selectorINS0_10empty_typeELb1EEEZNS1_14transform_implILb1ES3_S6_PS5_S8_NS0_8identityIS5_EEEE10hipError_tT2_T3_mT4_P12ihipStream_tbEUlT_E_NS1_11comp_targetILNS1_3genE0ELNS1_11target_archE4294967295ELNS1_3gpuE0ELNS1_3repE0EEENS1_30default_config_static_selectorELNS0_4arch9wavefront6targetE1EEEvT1_
    .private_segment_fixed_size: 0
    .sgpr_count:     6
    .sgpr_spill_count: 0
    .symbol:         _ZN7rocprim17ROCPRIM_400000_NS6detail17trampoline_kernelINS0_14default_configENS1_25transform_config_selectorINS0_10empty_typeELb1EEEZNS1_14transform_implILb1ES3_S6_PS5_S8_NS0_8identityIS5_EEEE10hipError_tT2_T3_mT4_P12ihipStream_tbEUlT_E_NS1_11comp_targetILNS1_3genE0ELNS1_11target_archE4294967295ELNS1_3gpuE0ELNS1_3repE0EEENS1_30default_config_static_selectorELNS0_4arch9wavefront6targetE1EEEvT1_.kd
    .uniform_work_group_size: 1
    .uses_dynamic_stack: false
    .vgpr_count:     0
    .vgpr_spill_count: 0
    .wavefront_size: 64
  - .agpr_count:     0
    .args:
      - .offset:         0
        .size:           40
        .value_kind:     by_value
    .group_segment_fixed_size: 0
    .kernarg_segment_align: 8
    .kernarg_segment_size: 40
    .language:       OpenCL C
    .language_version:
      - 2
      - 0
    .max_flat_workgroup_size: 1024
    .name:           _ZN7rocprim17ROCPRIM_400000_NS6detail17trampoline_kernelINS0_14default_configENS1_25transform_config_selectorINS0_10empty_typeELb1EEEZNS1_14transform_implILb1ES3_S6_PS5_S8_NS0_8identityIS5_EEEE10hipError_tT2_T3_mT4_P12ihipStream_tbEUlT_E_NS1_11comp_targetILNS1_3genE10ELNS1_11target_archE1201ELNS1_3gpuE5ELNS1_3repE0EEENS1_30default_config_static_selectorELNS0_4arch9wavefront6targetE1EEEvT1_
    .private_segment_fixed_size: 0
    .sgpr_count:     6
    .sgpr_spill_count: 0
    .symbol:         _ZN7rocprim17ROCPRIM_400000_NS6detail17trampoline_kernelINS0_14default_configENS1_25transform_config_selectorINS0_10empty_typeELb1EEEZNS1_14transform_implILb1ES3_S6_PS5_S8_NS0_8identityIS5_EEEE10hipError_tT2_T3_mT4_P12ihipStream_tbEUlT_E_NS1_11comp_targetILNS1_3genE10ELNS1_11target_archE1201ELNS1_3gpuE5ELNS1_3repE0EEENS1_30default_config_static_selectorELNS0_4arch9wavefront6targetE1EEEvT1_.kd
    .uniform_work_group_size: 1
    .uses_dynamic_stack: false
    .vgpr_count:     0
    .vgpr_spill_count: 0
    .wavefront_size: 64
  - .agpr_count:     0
    .args:
      - .offset:         0
        .size:           40
        .value_kind:     by_value
    .group_segment_fixed_size: 0
    .kernarg_segment_align: 8
    .kernarg_segment_size: 40
    .language:       OpenCL C
    .language_version:
      - 2
      - 0
    .max_flat_workgroup_size: 256
    .name:           _ZN7rocprim17ROCPRIM_400000_NS6detail17trampoline_kernelINS0_14default_configENS1_25transform_config_selectorINS0_10empty_typeELb1EEEZNS1_14transform_implILb1ES3_S6_PS5_S8_NS0_8identityIS5_EEEE10hipError_tT2_T3_mT4_P12ihipStream_tbEUlT_E_NS1_11comp_targetILNS1_3genE5ELNS1_11target_archE942ELNS1_3gpuE9ELNS1_3repE0EEENS1_30default_config_static_selectorELNS0_4arch9wavefront6targetE1EEEvT1_
    .private_segment_fixed_size: 0
    .sgpr_count:     6
    .sgpr_spill_count: 0
    .symbol:         _ZN7rocprim17ROCPRIM_400000_NS6detail17trampoline_kernelINS0_14default_configENS1_25transform_config_selectorINS0_10empty_typeELb1EEEZNS1_14transform_implILb1ES3_S6_PS5_S8_NS0_8identityIS5_EEEE10hipError_tT2_T3_mT4_P12ihipStream_tbEUlT_E_NS1_11comp_targetILNS1_3genE5ELNS1_11target_archE942ELNS1_3gpuE9ELNS1_3repE0EEENS1_30default_config_static_selectorELNS0_4arch9wavefront6targetE1EEEvT1_.kd
    .uniform_work_group_size: 1
    .uses_dynamic_stack: false
    .vgpr_count:     0
    .vgpr_spill_count: 0
    .wavefront_size: 64
  - .agpr_count:     0
    .args:
      - .offset:         0
        .size:           40
        .value_kind:     by_value
    .group_segment_fixed_size: 0
    .kernarg_segment_align: 8
    .kernarg_segment_size: 40
    .language:       OpenCL C
    .language_version:
      - 2
      - 0
    .max_flat_workgroup_size: 1024
    .name:           _ZN7rocprim17ROCPRIM_400000_NS6detail17trampoline_kernelINS0_14default_configENS1_25transform_config_selectorINS0_10empty_typeELb1EEEZNS1_14transform_implILb1ES3_S6_PS5_S8_NS0_8identityIS5_EEEE10hipError_tT2_T3_mT4_P12ihipStream_tbEUlT_E_NS1_11comp_targetILNS1_3genE4ELNS1_11target_archE910ELNS1_3gpuE8ELNS1_3repE0EEENS1_30default_config_static_selectorELNS0_4arch9wavefront6targetE1EEEvT1_
    .private_segment_fixed_size: 0
    .sgpr_count:     6
    .sgpr_spill_count: 0
    .symbol:         _ZN7rocprim17ROCPRIM_400000_NS6detail17trampoline_kernelINS0_14default_configENS1_25transform_config_selectorINS0_10empty_typeELb1EEEZNS1_14transform_implILb1ES3_S6_PS5_S8_NS0_8identityIS5_EEEE10hipError_tT2_T3_mT4_P12ihipStream_tbEUlT_E_NS1_11comp_targetILNS1_3genE4ELNS1_11target_archE910ELNS1_3gpuE8ELNS1_3repE0EEENS1_30default_config_static_selectorELNS0_4arch9wavefront6targetE1EEEvT1_.kd
    .uniform_work_group_size: 1
    .uses_dynamic_stack: false
    .vgpr_count:     0
    .vgpr_spill_count: 0
    .wavefront_size: 64
  - .agpr_count:     0
    .args:
      - .offset:         0
        .size:           40
        .value_kind:     by_value
    .group_segment_fixed_size: 0
    .kernarg_segment_align: 8
    .kernarg_segment_size: 40
    .language:       OpenCL C
    .language_version:
      - 2
      - 0
    .max_flat_workgroup_size: 128
    .name:           _ZN7rocprim17ROCPRIM_400000_NS6detail17trampoline_kernelINS0_14default_configENS1_25transform_config_selectorINS0_10empty_typeELb1EEEZNS1_14transform_implILb1ES3_S6_PS5_S8_NS0_8identityIS5_EEEE10hipError_tT2_T3_mT4_P12ihipStream_tbEUlT_E_NS1_11comp_targetILNS1_3genE3ELNS1_11target_archE908ELNS1_3gpuE7ELNS1_3repE0EEENS1_30default_config_static_selectorELNS0_4arch9wavefront6targetE1EEEvT1_
    .private_segment_fixed_size: 0
    .sgpr_count:     6
    .sgpr_spill_count: 0
    .symbol:         _ZN7rocprim17ROCPRIM_400000_NS6detail17trampoline_kernelINS0_14default_configENS1_25transform_config_selectorINS0_10empty_typeELb1EEEZNS1_14transform_implILb1ES3_S6_PS5_S8_NS0_8identityIS5_EEEE10hipError_tT2_T3_mT4_P12ihipStream_tbEUlT_E_NS1_11comp_targetILNS1_3genE3ELNS1_11target_archE908ELNS1_3gpuE7ELNS1_3repE0EEENS1_30default_config_static_selectorELNS0_4arch9wavefront6targetE1EEEvT1_.kd
    .uniform_work_group_size: 1
    .uses_dynamic_stack: false
    .vgpr_count:     0
    .vgpr_spill_count: 0
    .wavefront_size: 64
  - .agpr_count:     0
    .args:
      - .offset:         0
        .size:           40
        .value_kind:     by_value
    .group_segment_fixed_size: 0
    .kernarg_segment_align: 8
    .kernarg_segment_size: 40
    .language:       OpenCL C
    .language_version:
      - 2
      - 0
    .max_flat_workgroup_size: 512
    .name:           _ZN7rocprim17ROCPRIM_400000_NS6detail17trampoline_kernelINS0_14default_configENS1_25transform_config_selectorINS0_10empty_typeELb1EEEZNS1_14transform_implILb1ES3_S6_PS5_S8_NS0_8identityIS5_EEEE10hipError_tT2_T3_mT4_P12ihipStream_tbEUlT_E_NS1_11comp_targetILNS1_3genE2ELNS1_11target_archE906ELNS1_3gpuE6ELNS1_3repE0EEENS1_30default_config_static_selectorELNS0_4arch9wavefront6targetE1EEEvT1_
    .private_segment_fixed_size: 0
    .sgpr_count:     6
    .sgpr_spill_count: 0
    .symbol:         _ZN7rocprim17ROCPRIM_400000_NS6detail17trampoline_kernelINS0_14default_configENS1_25transform_config_selectorINS0_10empty_typeELb1EEEZNS1_14transform_implILb1ES3_S6_PS5_S8_NS0_8identityIS5_EEEE10hipError_tT2_T3_mT4_P12ihipStream_tbEUlT_E_NS1_11comp_targetILNS1_3genE2ELNS1_11target_archE906ELNS1_3gpuE6ELNS1_3repE0EEENS1_30default_config_static_selectorELNS0_4arch9wavefront6targetE1EEEvT1_.kd
    .uniform_work_group_size: 1
    .uses_dynamic_stack: false
    .vgpr_count:     0
    .vgpr_spill_count: 0
    .wavefront_size: 64
  - .agpr_count:     0
    .args:
      - .offset:         0
        .size:           40
        .value_kind:     by_value
    .group_segment_fixed_size: 0
    .kernarg_segment_align: 8
    .kernarg_segment_size: 40
    .language:       OpenCL C
    .language_version:
      - 2
      - 0
    .max_flat_workgroup_size: 1024
    .name:           _ZN7rocprim17ROCPRIM_400000_NS6detail17trampoline_kernelINS0_14default_configENS1_25transform_config_selectorINS0_10empty_typeELb1EEEZNS1_14transform_implILb1ES3_S6_PS5_S8_NS0_8identityIS5_EEEE10hipError_tT2_T3_mT4_P12ihipStream_tbEUlT_E_NS1_11comp_targetILNS1_3genE9ELNS1_11target_archE1100ELNS1_3gpuE3ELNS1_3repE0EEENS1_30default_config_static_selectorELNS0_4arch9wavefront6targetE1EEEvT1_
    .private_segment_fixed_size: 0
    .sgpr_count:     6
    .sgpr_spill_count: 0
    .symbol:         _ZN7rocprim17ROCPRIM_400000_NS6detail17trampoline_kernelINS0_14default_configENS1_25transform_config_selectorINS0_10empty_typeELb1EEEZNS1_14transform_implILb1ES3_S6_PS5_S8_NS0_8identityIS5_EEEE10hipError_tT2_T3_mT4_P12ihipStream_tbEUlT_E_NS1_11comp_targetILNS1_3genE9ELNS1_11target_archE1100ELNS1_3gpuE3ELNS1_3repE0EEENS1_30default_config_static_selectorELNS0_4arch9wavefront6targetE1EEEvT1_.kd
    .uniform_work_group_size: 1
    .uses_dynamic_stack: false
    .vgpr_count:     0
    .vgpr_spill_count: 0
    .wavefront_size: 64
  - .agpr_count:     0
    .args:
      - .offset:         0
        .size:           40
        .value_kind:     by_value
    .group_segment_fixed_size: 0
    .kernarg_segment_align: 8
    .kernarg_segment_size: 40
    .language:       OpenCL C
    .language_version:
      - 2
      - 0
    .max_flat_workgroup_size: 1024
    .name:           _ZN7rocprim17ROCPRIM_400000_NS6detail17trampoline_kernelINS0_14default_configENS1_25transform_config_selectorINS0_10empty_typeELb1EEEZNS1_14transform_implILb1ES3_S6_PS5_S8_NS0_8identityIS5_EEEE10hipError_tT2_T3_mT4_P12ihipStream_tbEUlT_E_NS1_11comp_targetILNS1_3genE8ELNS1_11target_archE1030ELNS1_3gpuE2ELNS1_3repE0EEENS1_30default_config_static_selectorELNS0_4arch9wavefront6targetE1EEEvT1_
    .private_segment_fixed_size: 0
    .sgpr_count:     6
    .sgpr_spill_count: 0
    .symbol:         _ZN7rocprim17ROCPRIM_400000_NS6detail17trampoline_kernelINS0_14default_configENS1_25transform_config_selectorINS0_10empty_typeELb1EEEZNS1_14transform_implILb1ES3_S6_PS5_S8_NS0_8identityIS5_EEEE10hipError_tT2_T3_mT4_P12ihipStream_tbEUlT_E_NS1_11comp_targetILNS1_3genE8ELNS1_11target_archE1030ELNS1_3gpuE2ELNS1_3repE0EEENS1_30default_config_static_selectorELNS0_4arch9wavefront6targetE1EEEvT1_.kd
    .uniform_work_group_size: 1
    .uses_dynamic_stack: false
    .vgpr_count:     0
    .vgpr_spill_count: 0
    .wavefront_size: 64
  - .agpr_count:     0
    .args:
      - .offset:         0
        .size:           24
        .value_kind:     by_value
      - .offset:         24
        .size:           8
        .value_kind:     by_value
      - .offset:         32
        .size:           8
        .value_kind:     by_value
    .group_segment_fixed_size: 0
    .kernarg_segment_align: 8
    .kernarg_segment_size: 40
    .language:       OpenCL C
    .language_version:
      - 2
      - 0
    .max_flat_workgroup_size: 256
    .name:           _ZN6thrust23THRUST_200600_302600_NS11hip_rocprim14__parallel_for6kernelILj256ENS1_11__transform17unary_transform_fINS0_10device_ptrINS0_5tupleIffNS0_9null_typeES8_S8_S8_S8_S8_S8_S8_EEEESA_NS4_14no_stencil_tagENS0_8identityIS9_EENS4_21always_true_predicateEEElLj1EEEvT0_T1_SH_
    .private_segment_fixed_size: 0
    .sgpr_count:     18
    .sgpr_spill_count: 0
    .symbol:         _ZN6thrust23THRUST_200600_302600_NS11hip_rocprim14__parallel_for6kernelILj256ENS1_11__transform17unary_transform_fINS0_10device_ptrINS0_5tupleIffNS0_9null_typeES8_S8_S8_S8_S8_S8_S8_EEEESA_NS4_14no_stencil_tagENS0_8identityIS9_EENS4_21always_true_predicateEEElLj1EEEvT0_T1_SH_.kd
    .uniform_work_group_size: 1
    .uses_dynamic_stack: false
    .vgpr_count:     6
    .vgpr_spill_count: 0
    .wavefront_size: 64
  - .agpr_count:     0
    .args:
      - .address_space:  global
        .offset:         0
        .size:           8
        .value_kind:     global_buffer
      - .offset:         8
        .size:           4
        .value_kind:     by_value
      - .offset:         12
        .size:           1
        .value_kind:     by_value
      - .offset:         16
        .size:           4
        .value_kind:     by_value
      - .address_space:  global
        .offset:         24
        .size:           8
        .value_kind:     global_buffer
      - .offset:         32
        .size:           4
        .value_kind:     hidden_block_count_x
      - .offset:         36
        .size:           4
        .value_kind:     hidden_block_count_y
      - .offset:         40
        .size:           4
        .value_kind:     hidden_block_count_z
      - .offset:         44
        .size:           2
        .value_kind:     hidden_group_size_x
      - .offset:         46
        .size:           2
        .value_kind:     hidden_group_size_y
      - .offset:         48
        .size:           2
        .value_kind:     hidden_group_size_z
      - .offset:         50
        .size:           2
        .value_kind:     hidden_remainder_x
      - .offset:         52
        .size:           2
        .value_kind:     hidden_remainder_y
      - .offset:         54
        .size:           2
        .value_kind:     hidden_remainder_z
      - .offset:         72
        .size:           8
        .value_kind:     hidden_global_offset_x
      - .offset:         80
        .size:           8
        .value_kind:     hidden_global_offset_y
      - .offset:         88
        .size:           8
        .value_kind:     hidden_global_offset_z
      - .offset:         96
        .size:           2
        .value_kind:     hidden_grid_dims
    .group_segment_fixed_size: 0
    .kernarg_segment_align: 8
    .kernarg_segment_size: 288
    .language:       OpenCL C
    .language_version:
      - 2
      - 0
    .max_flat_workgroup_size: 256
    .name:           _ZN7rocprim17ROCPRIM_400000_NS6detail31init_lookback_scan_state_kernelINS1_19lookback_scan_stateIjLb0ELb1EEENS1_16block_id_wrapperIjLb0EEEEEvT_jT0_jPNS7_10value_typeE
    .private_segment_fixed_size: 0
    .sgpr_count:     15
    .sgpr_spill_count: 0
    .symbol:         _ZN7rocprim17ROCPRIM_400000_NS6detail31init_lookback_scan_state_kernelINS1_19lookback_scan_stateIjLb0ELb1EEENS1_16block_id_wrapperIjLb0EEEEEvT_jT0_jPNS7_10value_typeE.kd
    .uniform_work_group_size: 1
    .uses_dynamic_stack: false
    .vgpr_count:     6
    .vgpr_spill_count: 0
    .wavefront_size: 64
  - .agpr_count:     0
    .args:
      - .offset:         0
        .size:           112
        .value_kind:     by_value
    .group_segment_fixed_size: 0
    .kernarg_segment_align: 8
    .kernarg_segment_size: 112
    .language:       OpenCL C
    .language_version:
      - 2
      - 0
    .max_flat_workgroup_size: 512
    .name:           _ZN7rocprim17ROCPRIM_400000_NS6detail17trampoline_kernelINS0_14default_configENS1_25partition_config_selectorILNS1_17partition_subalgoE8EN6thrust23THRUST_200600_302600_NS5tupleIffNS7_9null_typeES9_S9_S9_S9_S9_S9_S9_EENS0_10empty_typeEbEEZZNS1_14partition_implILS5_8ELb0ES3_jNS7_6detail15normal_iteratorINS7_10device_ptrISA_EEEEPSB_PKSB_NS0_5tupleIJSI_SB_EEENSM_IJSJ_SJ_EEENS0_18inequality_wrapperINS7_8equal_toISA_EEEEPmJSB_EEE10hipError_tPvRmT3_T4_T5_T6_T7_T9_mT8_P12ihipStream_tbDpT10_ENKUlT_T0_E_clISt17integral_constantIbLb0EES1D_EEDaS18_S19_EUlS18_E_NS1_11comp_targetILNS1_3genE0ELNS1_11target_archE4294967295ELNS1_3gpuE0ELNS1_3repE0EEENS1_30default_config_static_selectorELNS0_4arch9wavefront6targetE1EEEvT1_
    .private_segment_fixed_size: 0
    .sgpr_count:     6
    .sgpr_spill_count: 0
    .symbol:         _ZN7rocprim17ROCPRIM_400000_NS6detail17trampoline_kernelINS0_14default_configENS1_25partition_config_selectorILNS1_17partition_subalgoE8EN6thrust23THRUST_200600_302600_NS5tupleIffNS7_9null_typeES9_S9_S9_S9_S9_S9_S9_EENS0_10empty_typeEbEEZZNS1_14partition_implILS5_8ELb0ES3_jNS7_6detail15normal_iteratorINS7_10device_ptrISA_EEEEPSB_PKSB_NS0_5tupleIJSI_SB_EEENSM_IJSJ_SJ_EEENS0_18inequality_wrapperINS7_8equal_toISA_EEEEPmJSB_EEE10hipError_tPvRmT3_T4_T5_T6_T7_T9_mT8_P12ihipStream_tbDpT10_ENKUlT_T0_E_clISt17integral_constantIbLb0EES1D_EEDaS18_S19_EUlS18_E_NS1_11comp_targetILNS1_3genE0ELNS1_11target_archE4294967295ELNS1_3gpuE0ELNS1_3repE0EEENS1_30default_config_static_selectorELNS0_4arch9wavefront6targetE1EEEvT1_.kd
    .uniform_work_group_size: 1
    .uses_dynamic_stack: false
    .vgpr_count:     0
    .vgpr_spill_count: 0
    .wavefront_size: 64
  - .agpr_count:     0
    .args:
      - .offset:         0
        .size:           112
        .value_kind:     by_value
    .group_segment_fixed_size: 28680
    .kernarg_segment_align: 8
    .kernarg_segment_size: 112
    .language:       OpenCL C
    .language_version:
      - 2
      - 0
    .max_flat_workgroup_size: 512
    .name:           _ZN7rocprim17ROCPRIM_400000_NS6detail17trampoline_kernelINS0_14default_configENS1_25partition_config_selectorILNS1_17partition_subalgoE8EN6thrust23THRUST_200600_302600_NS5tupleIffNS7_9null_typeES9_S9_S9_S9_S9_S9_S9_EENS0_10empty_typeEbEEZZNS1_14partition_implILS5_8ELb0ES3_jNS7_6detail15normal_iteratorINS7_10device_ptrISA_EEEEPSB_PKSB_NS0_5tupleIJSI_SB_EEENSM_IJSJ_SJ_EEENS0_18inequality_wrapperINS7_8equal_toISA_EEEEPmJSB_EEE10hipError_tPvRmT3_T4_T5_T6_T7_T9_mT8_P12ihipStream_tbDpT10_ENKUlT_T0_E_clISt17integral_constantIbLb0EES1D_EEDaS18_S19_EUlS18_E_NS1_11comp_targetILNS1_3genE5ELNS1_11target_archE942ELNS1_3gpuE9ELNS1_3repE0EEENS1_30default_config_static_selectorELNS0_4arch9wavefront6targetE1EEEvT1_
    .private_segment_fixed_size: 0
    .sgpr_count:     50
    .sgpr_spill_count: 0
    .symbol:         _ZN7rocprim17ROCPRIM_400000_NS6detail17trampoline_kernelINS0_14default_configENS1_25partition_config_selectorILNS1_17partition_subalgoE8EN6thrust23THRUST_200600_302600_NS5tupleIffNS7_9null_typeES9_S9_S9_S9_S9_S9_S9_EENS0_10empty_typeEbEEZZNS1_14partition_implILS5_8ELb0ES3_jNS7_6detail15normal_iteratorINS7_10device_ptrISA_EEEEPSB_PKSB_NS0_5tupleIJSI_SB_EEENSM_IJSJ_SJ_EEENS0_18inequality_wrapperINS7_8equal_toISA_EEEEPmJSB_EEE10hipError_tPvRmT3_T4_T5_T6_T7_T9_mT8_P12ihipStream_tbDpT10_ENKUlT_T0_E_clISt17integral_constantIbLb0EES1D_EEDaS18_S19_EUlS18_E_NS1_11comp_targetILNS1_3genE5ELNS1_11target_archE942ELNS1_3gpuE9ELNS1_3repE0EEENS1_30default_config_static_selectorELNS0_4arch9wavefront6targetE1EEEvT1_.kd
    .uniform_work_group_size: 1
    .uses_dynamic_stack: false
    .vgpr_count:     72
    .vgpr_spill_count: 0
    .wavefront_size: 64
  - .agpr_count:     0
    .args:
      - .offset:         0
        .size:           112
        .value_kind:     by_value
    .group_segment_fixed_size: 0
    .kernarg_segment_align: 8
    .kernarg_segment_size: 112
    .language:       OpenCL C
    .language_version:
      - 2
      - 0
    .max_flat_workgroup_size: 256
    .name:           _ZN7rocprim17ROCPRIM_400000_NS6detail17trampoline_kernelINS0_14default_configENS1_25partition_config_selectorILNS1_17partition_subalgoE8EN6thrust23THRUST_200600_302600_NS5tupleIffNS7_9null_typeES9_S9_S9_S9_S9_S9_S9_EENS0_10empty_typeEbEEZZNS1_14partition_implILS5_8ELb0ES3_jNS7_6detail15normal_iteratorINS7_10device_ptrISA_EEEEPSB_PKSB_NS0_5tupleIJSI_SB_EEENSM_IJSJ_SJ_EEENS0_18inequality_wrapperINS7_8equal_toISA_EEEEPmJSB_EEE10hipError_tPvRmT3_T4_T5_T6_T7_T9_mT8_P12ihipStream_tbDpT10_ENKUlT_T0_E_clISt17integral_constantIbLb0EES1D_EEDaS18_S19_EUlS18_E_NS1_11comp_targetILNS1_3genE4ELNS1_11target_archE910ELNS1_3gpuE8ELNS1_3repE0EEENS1_30default_config_static_selectorELNS0_4arch9wavefront6targetE1EEEvT1_
    .private_segment_fixed_size: 0
    .sgpr_count:     6
    .sgpr_spill_count: 0
    .symbol:         _ZN7rocprim17ROCPRIM_400000_NS6detail17trampoline_kernelINS0_14default_configENS1_25partition_config_selectorILNS1_17partition_subalgoE8EN6thrust23THRUST_200600_302600_NS5tupleIffNS7_9null_typeES9_S9_S9_S9_S9_S9_S9_EENS0_10empty_typeEbEEZZNS1_14partition_implILS5_8ELb0ES3_jNS7_6detail15normal_iteratorINS7_10device_ptrISA_EEEEPSB_PKSB_NS0_5tupleIJSI_SB_EEENSM_IJSJ_SJ_EEENS0_18inequality_wrapperINS7_8equal_toISA_EEEEPmJSB_EEE10hipError_tPvRmT3_T4_T5_T6_T7_T9_mT8_P12ihipStream_tbDpT10_ENKUlT_T0_E_clISt17integral_constantIbLb0EES1D_EEDaS18_S19_EUlS18_E_NS1_11comp_targetILNS1_3genE4ELNS1_11target_archE910ELNS1_3gpuE8ELNS1_3repE0EEENS1_30default_config_static_selectorELNS0_4arch9wavefront6targetE1EEEvT1_.kd
    .uniform_work_group_size: 1
    .uses_dynamic_stack: false
    .vgpr_count:     0
    .vgpr_spill_count: 0
    .wavefront_size: 64
  - .agpr_count:     0
    .args:
      - .offset:         0
        .size:           112
        .value_kind:     by_value
    .group_segment_fixed_size: 0
    .kernarg_segment_align: 8
    .kernarg_segment_size: 112
    .language:       OpenCL C
    .language_version:
      - 2
      - 0
    .max_flat_workgroup_size: 512
    .name:           _ZN7rocprim17ROCPRIM_400000_NS6detail17trampoline_kernelINS0_14default_configENS1_25partition_config_selectorILNS1_17partition_subalgoE8EN6thrust23THRUST_200600_302600_NS5tupleIffNS7_9null_typeES9_S9_S9_S9_S9_S9_S9_EENS0_10empty_typeEbEEZZNS1_14partition_implILS5_8ELb0ES3_jNS7_6detail15normal_iteratorINS7_10device_ptrISA_EEEEPSB_PKSB_NS0_5tupleIJSI_SB_EEENSM_IJSJ_SJ_EEENS0_18inequality_wrapperINS7_8equal_toISA_EEEEPmJSB_EEE10hipError_tPvRmT3_T4_T5_T6_T7_T9_mT8_P12ihipStream_tbDpT10_ENKUlT_T0_E_clISt17integral_constantIbLb0EES1D_EEDaS18_S19_EUlS18_E_NS1_11comp_targetILNS1_3genE3ELNS1_11target_archE908ELNS1_3gpuE7ELNS1_3repE0EEENS1_30default_config_static_selectorELNS0_4arch9wavefront6targetE1EEEvT1_
    .private_segment_fixed_size: 0
    .sgpr_count:     6
    .sgpr_spill_count: 0
    .symbol:         _ZN7rocprim17ROCPRIM_400000_NS6detail17trampoline_kernelINS0_14default_configENS1_25partition_config_selectorILNS1_17partition_subalgoE8EN6thrust23THRUST_200600_302600_NS5tupleIffNS7_9null_typeES9_S9_S9_S9_S9_S9_S9_EENS0_10empty_typeEbEEZZNS1_14partition_implILS5_8ELb0ES3_jNS7_6detail15normal_iteratorINS7_10device_ptrISA_EEEEPSB_PKSB_NS0_5tupleIJSI_SB_EEENSM_IJSJ_SJ_EEENS0_18inequality_wrapperINS7_8equal_toISA_EEEEPmJSB_EEE10hipError_tPvRmT3_T4_T5_T6_T7_T9_mT8_P12ihipStream_tbDpT10_ENKUlT_T0_E_clISt17integral_constantIbLb0EES1D_EEDaS18_S19_EUlS18_E_NS1_11comp_targetILNS1_3genE3ELNS1_11target_archE908ELNS1_3gpuE7ELNS1_3repE0EEENS1_30default_config_static_selectorELNS0_4arch9wavefront6targetE1EEEvT1_.kd
    .uniform_work_group_size: 1
    .uses_dynamic_stack: false
    .vgpr_count:     0
    .vgpr_spill_count: 0
    .wavefront_size: 64
  - .agpr_count:     0
    .args:
      - .offset:         0
        .size:           112
        .value_kind:     by_value
    .group_segment_fixed_size: 0
    .kernarg_segment_align: 8
    .kernarg_segment_size: 112
    .language:       OpenCL C
    .language_version:
      - 2
      - 0
    .max_flat_workgroup_size: 256
    .name:           _ZN7rocprim17ROCPRIM_400000_NS6detail17trampoline_kernelINS0_14default_configENS1_25partition_config_selectorILNS1_17partition_subalgoE8EN6thrust23THRUST_200600_302600_NS5tupleIffNS7_9null_typeES9_S9_S9_S9_S9_S9_S9_EENS0_10empty_typeEbEEZZNS1_14partition_implILS5_8ELb0ES3_jNS7_6detail15normal_iteratorINS7_10device_ptrISA_EEEEPSB_PKSB_NS0_5tupleIJSI_SB_EEENSM_IJSJ_SJ_EEENS0_18inequality_wrapperINS7_8equal_toISA_EEEEPmJSB_EEE10hipError_tPvRmT3_T4_T5_T6_T7_T9_mT8_P12ihipStream_tbDpT10_ENKUlT_T0_E_clISt17integral_constantIbLb0EES1D_EEDaS18_S19_EUlS18_E_NS1_11comp_targetILNS1_3genE2ELNS1_11target_archE906ELNS1_3gpuE6ELNS1_3repE0EEENS1_30default_config_static_selectorELNS0_4arch9wavefront6targetE1EEEvT1_
    .private_segment_fixed_size: 0
    .sgpr_count:     6
    .sgpr_spill_count: 0
    .symbol:         _ZN7rocprim17ROCPRIM_400000_NS6detail17trampoline_kernelINS0_14default_configENS1_25partition_config_selectorILNS1_17partition_subalgoE8EN6thrust23THRUST_200600_302600_NS5tupleIffNS7_9null_typeES9_S9_S9_S9_S9_S9_S9_EENS0_10empty_typeEbEEZZNS1_14partition_implILS5_8ELb0ES3_jNS7_6detail15normal_iteratorINS7_10device_ptrISA_EEEEPSB_PKSB_NS0_5tupleIJSI_SB_EEENSM_IJSJ_SJ_EEENS0_18inequality_wrapperINS7_8equal_toISA_EEEEPmJSB_EEE10hipError_tPvRmT3_T4_T5_T6_T7_T9_mT8_P12ihipStream_tbDpT10_ENKUlT_T0_E_clISt17integral_constantIbLb0EES1D_EEDaS18_S19_EUlS18_E_NS1_11comp_targetILNS1_3genE2ELNS1_11target_archE906ELNS1_3gpuE6ELNS1_3repE0EEENS1_30default_config_static_selectorELNS0_4arch9wavefront6targetE1EEEvT1_.kd
    .uniform_work_group_size: 1
    .uses_dynamic_stack: false
    .vgpr_count:     0
    .vgpr_spill_count: 0
    .wavefront_size: 64
  - .agpr_count:     0
    .args:
      - .offset:         0
        .size:           112
        .value_kind:     by_value
    .group_segment_fixed_size: 0
    .kernarg_segment_align: 8
    .kernarg_segment_size: 112
    .language:       OpenCL C
    .language_version:
      - 2
      - 0
    .max_flat_workgroup_size: 384
    .name:           _ZN7rocprim17ROCPRIM_400000_NS6detail17trampoline_kernelINS0_14default_configENS1_25partition_config_selectorILNS1_17partition_subalgoE8EN6thrust23THRUST_200600_302600_NS5tupleIffNS7_9null_typeES9_S9_S9_S9_S9_S9_S9_EENS0_10empty_typeEbEEZZNS1_14partition_implILS5_8ELb0ES3_jNS7_6detail15normal_iteratorINS7_10device_ptrISA_EEEEPSB_PKSB_NS0_5tupleIJSI_SB_EEENSM_IJSJ_SJ_EEENS0_18inequality_wrapperINS7_8equal_toISA_EEEEPmJSB_EEE10hipError_tPvRmT3_T4_T5_T6_T7_T9_mT8_P12ihipStream_tbDpT10_ENKUlT_T0_E_clISt17integral_constantIbLb0EES1D_EEDaS18_S19_EUlS18_E_NS1_11comp_targetILNS1_3genE10ELNS1_11target_archE1200ELNS1_3gpuE4ELNS1_3repE0EEENS1_30default_config_static_selectorELNS0_4arch9wavefront6targetE1EEEvT1_
    .private_segment_fixed_size: 0
    .sgpr_count:     6
    .sgpr_spill_count: 0
    .symbol:         _ZN7rocprim17ROCPRIM_400000_NS6detail17trampoline_kernelINS0_14default_configENS1_25partition_config_selectorILNS1_17partition_subalgoE8EN6thrust23THRUST_200600_302600_NS5tupleIffNS7_9null_typeES9_S9_S9_S9_S9_S9_S9_EENS0_10empty_typeEbEEZZNS1_14partition_implILS5_8ELb0ES3_jNS7_6detail15normal_iteratorINS7_10device_ptrISA_EEEEPSB_PKSB_NS0_5tupleIJSI_SB_EEENSM_IJSJ_SJ_EEENS0_18inequality_wrapperINS7_8equal_toISA_EEEEPmJSB_EEE10hipError_tPvRmT3_T4_T5_T6_T7_T9_mT8_P12ihipStream_tbDpT10_ENKUlT_T0_E_clISt17integral_constantIbLb0EES1D_EEDaS18_S19_EUlS18_E_NS1_11comp_targetILNS1_3genE10ELNS1_11target_archE1200ELNS1_3gpuE4ELNS1_3repE0EEENS1_30default_config_static_selectorELNS0_4arch9wavefront6targetE1EEEvT1_.kd
    .uniform_work_group_size: 1
    .uses_dynamic_stack: false
    .vgpr_count:     0
    .vgpr_spill_count: 0
    .wavefront_size: 64
  - .agpr_count:     0
    .args:
      - .offset:         0
        .size:           112
        .value_kind:     by_value
    .group_segment_fixed_size: 0
    .kernarg_segment_align: 8
    .kernarg_segment_size: 112
    .language:       OpenCL C
    .language_version:
      - 2
      - 0
    .max_flat_workgroup_size: 512
    .name:           _ZN7rocprim17ROCPRIM_400000_NS6detail17trampoline_kernelINS0_14default_configENS1_25partition_config_selectorILNS1_17partition_subalgoE8EN6thrust23THRUST_200600_302600_NS5tupleIffNS7_9null_typeES9_S9_S9_S9_S9_S9_S9_EENS0_10empty_typeEbEEZZNS1_14partition_implILS5_8ELb0ES3_jNS7_6detail15normal_iteratorINS7_10device_ptrISA_EEEEPSB_PKSB_NS0_5tupleIJSI_SB_EEENSM_IJSJ_SJ_EEENS0_18inequality_wrapperINS7_8equal_toISA_EEEEPmJSB_EEE10hipError_tPvRmT3_T4_T5_T6_T7_T9_mT8_P12ihipStream_tbDpT10_ENKUlT_T0_E_clISt17integral_constantIbLb0EES1D_EEDaS18_S19_EUlS18_E_NS1_11comp_targetILNS1_3genE9ELNS1_11target_archE1100ELNS1_3gpuE3ELNS1_3repE0EEENS1_30default_config_static_selectorELNS0_4arch9wavefront6targetE1EEEvT1_
    .private_segment_fixed_size: 0
    .sgpr_count:     6
    .sgpr_spill_count: 0
    .symbol:         _ZN7rocprim17ROCPRIM_400000_NS6detail17trampoline_kernelINS0_14default_configENS1_25partition_config_selectorILNS1_17partition_subalgoE8EN6thrust23THRUST_200600_302600_NS5tupleIffNS7_9null_typeES9_S9_S9_S9_S9_S9_S9_EENS0_10empty_typeEbEEZZNS1_14partition_implILS5_8ELb0ES3_jNS7_6detail15normal_iteratorINS7_10device_ptrISA_EEEEPSB_PKSB_NS0_5tupleIJSI_SB_EEENSM_IJSJ_SJ_EEENS0_18inequality_wrapperINS7_8equal_toISA_EEEEPmJSB_EEE10hipError_tPvRmT3_T4_T5_T6_T7_T9_mT8_P12ihipStream_tbDpT10_ENKUlT_T0_E_clISt17integral_constantIbLb0EES1D_EEDaS18_S19_EUlS18_E_NS1_11comp_targetILNS1_3genE9ELNS1_11target_archE1100ELNS1_3gpuE3ELNS1_3repE0EEENS1_30default_config_static_selectorELNS0_4arch9wavefront6targetE1EEEvT1_.kd
    .uniform_work_group_size: 1
    .uses_dynamic_stack: false
    .vgpr_count:     0
    .vgpr_spill_count: 0
    .wavefront_size: 64
  - .agpr_count:     0
    .args:
      - .offset:         0
        .size:           112
        .value_kind:     by_value
    .group_segment_fixed_size: 0
    .kernarg_segment_align: 8
    .kernarg_segment_size: 112
    .language:       OpenCL C
    .language_version:
      - 2
      - 0
    .max_flat_workgroup_size: 512
    .name:           _ZN7rocprim17ROCPRIM_400000_NS6detail17trampoline_kernelINS0_14default_configENS1_25partition_config_selectorILNS1_17partition_subalgoE8EN6thrust23THRUST_200600_302600_NS5tupleIffNS7_9null_typeES9_S9_S9_S9_S9_S9_S9_EENS0_10empty_typeEbEEZZNS1_14partition_implILS5_8ELb0ES3_jNS7_6detail15normal_iteratorINS7_10device_ptrISA_EEEEPSB_PKSB_NS0_5tupleIJSI_SB_EEENSM_IJSJ_SJ_EEENS0_18inequality_wrapperINS7_8equal_toISA_EEEEPmJSB_EEE10hipError_tPvRmT3_T4_T5_T6_T7_T9_mT8_P12ihipStream_tbDpT10_ENKUlT_T0_E_clISt17integral_constantIbLb0EES1D_EEDaS18_S19_EUlS18_E_NS1_11comp_targetILNS1_3genE8ELNS1_11target_archE1030ELNS1_3gpuE2ELNS1_3repE0EEENS1_30default_config_static_selectorELNS0_4arch9wavefront6targetE1EEEvT1_
    .private_segment_fixed_size: 0
    .sgpr_count:     6
    .sgpr_spill_count: 0
    .symbol:         _ZN7rocprim17ROCPRIM_400000_NS6detail17trampoline_kernelINS0_14default_configENS1_25partition_config_selectorILNS1_17partition_subalgoE8EN6thrust23THRUST_200600_302600_NS5tupleIffNS7_9null_typeES9_S9_S9_S9_S9_S9_S9_EENS0_10empty_typeEbEEZZNS1_14partition_implILS5_8ELb0ES3_jNS7_6detail15normal_iteratorINS7_10device_ptrISA_EEEEPSB_PKSB_NS0_5tupleIJSI_SB_EEENSM_IJSJ_SJ_EEENS0_18inequality_wrapperINS7_8equal_toISA_EEEEPmJSB_EEE10hipError_tPvRmT3_T4_T5_T6_T7_T9_mT8_P12ihipStream_tbDpT10_ENKUlT_T0_E_clISt17integral_constantIbLb0EES1D_EEDaS18_S19_EUlS18_E_NS1_11comp_targetILNS1_3genE8ELNS1_11target_archE1030ELNS1_3gpuE2ELNS1_3repE0EEENS1_30default_config_static_selectorELNS0_4arch9wavefront6targetE1EEEvT1_.kd
    .uniform_work_group_size: 1
    .uses_dynamic_stack: false
    .vgpr_count:     0
    .vgpr_spill_count: 0
    .wavefront_size: 64
  - .agpr_count:     0
    .args:
      - .offset:         0
        .size:           40
        .value_kind:     by_value
    .group_segment_fixed_size: 0
    .kernarg_segment_align: 8
    .kernarg_segment_size: 40
    .language:       OpenCL C
    .language_version:
      - 2
      - 0
    .max_flat_workgroup_size: 128
    .name:           _ZN7rocprim17ROCPRIM_400000_NS6detail17trampoline_kernelINS0_14default_configENS1_25transform_config_selectorImLb1EEEZNS1_14transform_implILb1ES3_S5_PmS7_NS0_8identityIvEEEE10hipError_tT2_T3_mT4_P12ihipStream_tbEUlT_E_NS1_11comp_targetILNS1_3genE0ELNS1_11target_archE4294967295ELNS1_3gpuE0ELNS1_3repE0EEENS1_30default_config_static_selectorELNS0_4arch9wavefront6targetE1EEEvT1_
    .private_segment_fixed_size: 0
    .sgpr_count:     6
    .sgpr_spill_count: 0
    .symbol:         _ZN7rocprim17ROCPRIM_400000_NS6detail17trampoline_kernelINS0_14default_configENS1_25transform_config_selectorImLb1EEEZNS1_14transform_implILb1ES3_S5_PmS7_NS0_8identityIvEEEE10hipError_tT2_T3_mT4_P12ihipStream_tbEUlT_E_NS1_11comp_targetILNS1_3genE0ELNS1_11target_archE4294967295ELNS1_3gpuE0ELNS1_3repE0EEENS1_30default_config_static_selectorELNS0_4arch9wavefront6targetE1EEEvT1_.kd
    .uniform_work_group_size: 1
    .uses_dynamic_stack: false
    .vgpr_count:     0
    .vgpr_spill_count: 0
    .wavefront_size: 64
  - .agpr_count:     0
    .args:
      - .offset:         0
        .size:           40
        .value_kind:     by_value
    .group_segment_fixed_size: 0
    .kernarg_segment_align: 8
    .kernarg_segment_size: 40
    .language:       OpenCL C
    .language_version:
      - 2
      - 0
    .max_flat_workgroup_size: 1024
    .name:           _ZN7rocprim17ROCPRIM_400000_NS6detail17trampoline_kernelINS0_14default_configENS1_25transform_config_selectorImLb1EEEZNS1_14transform_implILb1ES3_S5_PmS7_NS0_8identityIvEEEE10hipError_tT2_T3_mT4_P12ihipStream_tbEUlT_E_NS1_11comp_targetILNS1_3genE10ELNS1_11target_archE1201ELNS1_3gpuE5ELNS1_3repE0EEENS1_30default_config_static_selectorELNS0_4arch9wavefront6targetE1EEEvT1_
    .private_segment_fixed_size: 0
    .sgpr_count:     6
    .sgpr_spill_count: 0
    .symbol:         _ZN7rocprim17ROCPRIM_400000_NS6detail17trampoline_kernelINS0_14default_configENS1_25transform_config_selectorImLb1EEEZNS1_14transform_implILb1ES3_S5_PmS7_NS0_8identityIvEEEE10hipError_tT2_T3_mT4_P12ihipStream_tbEUlT_E_NS1_11comp_targetILNS1_3genE10ELNS1_11target_archE1201ELNS1_3gpuE5ELNS1_3repE0EEENS1_30default_config_static_selectorELNS0_4arch9wavefront6targetE1EEEvT1_.kd
    .uniform_work_group_size: 1
    .uses_dynamic_stack: false
    .vgpr_count:     0
    .vgpr_spill_count: 0
    .wavefront_size: 64
  - .agpr_count:     0
    .args:
      - .offset:         0
        .size:           40
        .value_kind:     by_value
      - .offset:         40
        .size:           4
        .value_kind:     hidden_block_count_x
      - .offset:         44
        .size:           4
        .value_kind:     hidden_block_count_y
      - .offset:         48
        .size:           4
        .value_kind:     hidden_block_count_z
      - .offset:         52
        .size:           2
        .value_kind:     hidden_group_size_x
      - .offset:         54
        .size:           2
        .value_kind:     hidden_group_size_y
      - .offset:         56
        .size:           2
        .value_kind:     hidden_group_size_z
      - .offset:         58
        .size:           2
        .value_kind:     hidden_remainder_x
      - .offset:         60
        .size:           2
        .value_kind:     hidden_remainder_y
      - .offset:         62
        .size:           2
        .value_kind:     hidden_remainder_z
      - .offset:         80
        .size:           8
        .value_kind:     hidden_global_offset_x
      - .offset:         88
        .size:           8
        .value_kind:     hidden_global_offset_y
      - .offset:         96
        .size:           8
        .value_kind:     hidden_global_offset_z
      - .offset:         104
        .size:           2
        .value_kind:     hidden_grid_dims
    .group_segment_fixed_size: 0
    .kernarg_segment_align: 8
    .kernarg_segment_size: 296
    .language:       OpenCL C
    .language_version:
      - 2
      - 0
    .max_flat_workgroup_size: 512
    .name:           _ZN7rocprim17ROCPRIM_400000_NS6detail17trampoline_kernelINS0_14default_configENS1_25transform_config_selectorImLb1EEEZNS1_14transform_implILb1ES3_S5_PmS7_NS0_8identityIvEEEE10hipError_tT2_T3_mT4_P12ihipStream_tbEUlT_E_NS1_11comp_targetILNS1_3genE5ELNS1_11target_archE942ELNS1_3gpuE9ELNS1_3repE0EEENS1_30default_config_static_selectorELNS0_4arch9wavefront6targetE1EEEvT1_
    .private_segment_fixed_size: 0
    .sgpr_count:     18
    .sgpr_spill_count: 0
    .symbol:         _ZN7rocprim17ROCPRIM_400000_NS6detail17trampoline_kernelINS0_14default_configENS1_25transform_config_selectorImLb1EEEZNS1_14transform_implILb1ES3_S5_PmS7_NS0_8identityIvEEEE10hipError_tT2_T3_mT4_P12ihipStream_tbEUlT_E_NS1_11comp_targetILNS1_3genE5ELNS1_11target_archE942ELNS1_3gpuE9ELNS1_3repE0EEENS1_30default_config_static_selectorELNS0_4arch9wavefront6targetE1EEEvT1_.kd
    .uniform_work_group_size: 1
    .uses_dynamic_stack: false
    .vgpr_count:     8
    .vgpr_spill_count: 0
    .wavefront_size: 64
  - .agpr_count:     0
    .args:
      - .offset:         0
        .size:           40
        .value_kind:     by_value
    .group_segment_fixed_size: 0
    .kernarg_segment_align: 8
    .kernarg_segment_size: 40
    .language:       OpenCL C
    .language_version:
      - 2
      - 0
    .max_flat_workgroup_size: 1024
    .name:           _ZN7rocprim17ROCPRIM_400000_NS6detail17trampoline_kernelINS0_14default_configENS1_25transform_config_selectorImLb1EEEZNS1_14transform_implILb1ES3_S5_PmS7_NS0_8identityIvEEEE10hipError_tT2_T3_mT4_P12ihipStream_tbEUlT_E_NS1_11comp_targetILNS1_3genE4ELNS1_11target_archE910ELNS1_3gpuE8ELNS1_3repE0EEENS1_30default_config_static_selectorELNS0_4arch9wavefront6targetE1EEEvT1_
    .private_segment_fixed_size: 0
    .sgpr_count:     6
    .sgpr_spill_count: 0
    .symbol:         _ZN7rocprim17ROCPRIM_400000_NS6detail17trampoline_kernelINS0_14default_configENS1_25transform_config_selectorImLb1EEEZNS1_14transform_implILb1ES3_S5_PmS7_NS0_8identityIvEEEE10hipError_tT2_T3_mT4_P12ihipStream_tbEUlT_E_NS1_11comp_targetILNS1_3genE4ELNS1_11target_archE910ELNS1_3gpuE8ELNS1_3repE0EEENS1_30default_config_static_selectorELNS0_4arch9wavefront6targetE1EEEvT1_.kd
    .uniform_work_group_size: 1
    .uses_dynamic_stack: false
    .vgpr_count:     0
    .vgpr_spill_count: 0
    .wavefront_size: 64
  - .agpr_count:     0
    .args:
      - .offset:         0
        .size:           40
        .value_kind:     by_value
    .group_segment_fixed_size: 0
    .kernarg_segment_align: 8
    .kernarg_segment_size: 40
    .language:       OpenCL C
    .language_version:
      - 2
      - 0
    .max_flat_workgroup_size: 128
    .name:           _ZN7rocprim17ROCPRIM_400000_NS6detail17trampoline_kernelINS0_14default_configENS1_25transform_config_selectorImLb1EEEZNS1_14transform_implILb1ES3_S5_PmS7_NS0_8identityIvEEEE10hipError_tT2_T3_mT4_P12ihipStream_tbEUlT_E_NS1_11comp_targetILNS1_3genE3ELNS1_11target_archE908ELNS1_3gpuE7ELNS1_3repE0EEENS1_30default_config_static_selectorELNS0_4arch9wavefront6targetE1EEEvT1_
    .private_segment_fixed_size: 0
    .sgpr_count:     6
    .sgpr_spill_count: 0
    .symbol:         _ZN7rocprim17ROCPRIM_400000_NS6detail17trampoline_kernelINS0_14default_configENS1_25transform_config_selectorImLb1EEEZNS1_14transform_implILb1ES3_S5_PmS7_NS0_8identityIvEEEE10hipError_tT2_T3_mT4_P12ihipStream_tbEUlT_E_NS1_11comp_targetILNS1_3genE3ELNS1_11target_archE908ELNS1_3gpuE7ELNS1_3repE0EEENS1_30default_config_static_selectorELNS0_4arch9wavefront6targetE1EEEvT1_.kd
    .uniform_work_group_size: 1
    .uses_dynamic_stack: false
    .vgpr_count:     0
    .vgpr_spill_count: 0
    .wavefront_size: 64
  - .agpr_count:     0
    .args:
      - .offset:         0
        .size:           40
        .value_kind:     by_value
    .group_segment_fixed_size: 0
    .kernarg_segment_align: 8
    .kernarg_segment_size: 40
    .language:       OpenCL C
    .language_version:
      - 2
      - 0
    .max_flat_workgroup_size: 512
    .name:           _ZN7rocprim17ROCPRIM_400000_NS6detail17trampoline_kernelINS0_14default_configENS1_25transform_config_selectorImLb1EEEZNS1_14transform_implILb1ES3_S5_PmS7_NS0_8identityIvEEEE10hipError_tT2_T3_mT4_P12ihipStream_tbEUlT_E_NS1_11comp_targetILNS1_3genE2ELNS1_11target_archE906ELNS1_3gpuE6ELNS1_3repE0EEENS1_30default_config_static_selectorELNS0_4arch9wavefront6targetE1EEEvT1_
    .private_segment_fixed_size: 0
    .sgpr_count:     6
    .sgpr_spill_count: 0
    .symbol:         _ZN7rocprim17ROCPRIM_400000_NS6detail17trampoline_kernelINS0_14default_configENS1_25transform_config_selectorImLb1EEEZNS1_14transform_implILb1ES3_S5_PmS7_NS0_8identityIvEEEE10hipError_tT2_T3_mT4_P12ihipStream_tbEUlT_E_NS1_11comp_targetILNS1_3genE2ELNS1_11target_archE906ELNS1_3gpuE6ELNS1_3repE0EEENS1_30default_config_static_selectorELNS0_4arch9wavefront6targetE1EEEvT1_.kd
    .uniform_work_group_size: 1
    .uses_dynamic_stack: false
    .vgpr_count:     0
    .vgpr_spill_count: 0
    .wavefront_size: 64
  - .agpr_count:     0
    .args:
      - .offset:         0
        .size:           40
        .value_kind:     by_value
    .group_segment_fixed_size: 0
    .kernarg_segment_align: 8
    .kernarg_segment_size: 40
    .language:       OpenCL C
    .language_version:
      - 2
      - 0
    .max_flat_workgroup_size: 1024
    .name:           _ZN7rocprim17ROCPRIM_400000_NS6detail17trampoline_kernelINS0_14default_configENS1_25transform_config_selectorImLb1EEEZNS1_14transform_implILb1ES3_S5_PmS7_NS0_8identityIvEEEE10hipError_tT2_T3_mT4_P12ihipStream_tbEUlT_E_NS1_11comp_targetILNS1_3genE9ELNS1_11target_archE1100ELNS1_3gpuE3ELNS1_3repE0EEENS1_30default_config_static_selectorELNS0_4arch9wavefront6targetE1EEEvT1_
    .private_segment_fixed_size: 0
    .sgpr_count:     6
    .sgpr_spill_count: 0
    .symbol:         _ZN7rocprim17ROCPRIM_400000_NS6detail17trampoline_kernelINS0_14default_configENS1_25transform_config_selectorImLb1EEEZNS1_14transform_implILb1ES3_S5_PmS7_NS0_8identityIvEEEE10hipError_tT2_T3_mT4_P12ihipStream_tbEUlT_E_NS1_11comp_targetILNS1_3genE9ELNS1_11target_archE1100ELNS1_3gpuE3ELNS1_3repE0EEENS1_30default_config_static_selectorELNS0_4arch9wavefront6targetE1EEEvT1_.kd
    .uniform_work_group_size: 1
    .uses_dynamic_stack: false
    .vgpr_count:     0
    .vgpr_spill_count: 0
    .wavefront_size: 64
  - .agpr_count:     0
    .args:
      - .offset:         0
        .size:           40
        .value_kind:     by_value
    .group_segment_fixed_size: 0
    .kernarg_segment_align: 8
    .kernarg_segment_size: 40
    .language:       OpenCL C
    .language_version:
      - 2
      - 0
    .max_flat_workgroup_size: 1024
    .name:           _ZN7rocprim17ROCPRIM_400000_NS6detail17trampoline_kernelINS0_14default_configENS1_25transform_config_selectorImLb1EEEZNS1_14transform_implILb1ES3_S5_PmS7_NS0_8identityIvEEEE10hipError_tT2_T3_mT4_P12ihipStream_tbEUlT_E_NS1_11comp_targetILNS1_3genE8ELNS1_11target_archE1030ELNS1_3gpuE2ELNS1_3repE0EEENS1_30default_config_static_selectorELNS0_4arch9wavefront6targetE1EEEvT1_
    .private_segment_fixed_size: 0
    .sgpr_count:     6
    .sgpr_spill_count: 0
    .symbol:         _ZN7rocprim17ROCPRIM_400000_NS6detail17trampoline_kernelINS0_14default_configENS1_25transform_config_selectorImLb1EEEZNS1_14transform_implILb1ES3_S5_PmS7_NS0_8identityIvEEEE10hipError_tT2_T3_mT4_P12ihipStream_tbEUlT_E_NS1_11comp_targetILNS1_3genE8ELNS1_11target_archE1030ELNS1_3gpuE2ELNS1_3repE0EEENS1_30default_config_static_selectorELNS0_4arch9wavefront6targetE1EEEvT1_.kd
    .uniform_work_group_size: 1
    .uses_dynamic_stack: false
    .vgpr_count:     0
    .vgpr_spill_count: 0
    .wavefront_size: 64
  - .agpr_count:     0
    .args:
      - .address_space:  global
        .offset:         0
        .size:           8
        .value_kind:     global_buffer
      - .offset:         8
        .size:           4
        .value_kind:     by_value
      - .address_space:  global
        .offset:         16
        .size:           8
        .value_kind:     global_buffer
      - .offset:         24
        .size:           4
        .value_kind:     by_value
      - .address_space:  global
        .offset:         32
        .size:           8
        .value_kind:     global_buffer
      - .offset:         40
        .size:           4
        .value_kind:     hidden_block_count_x
      - .offset:         44
        .size:           4
        .value_kind:     hidden_block_count_y
      - .offset:         48
        .size:           4
        .value_kind:     hidden_block_count_z
      - .offset:         52
        .size:           2
        .value_kind:     hidden_group_size_x
      - .offset:         54
        .size:           2
        .value_kind:     hidden_group_size_y
      - .offset:         56
        .size:           2
        .value_kind:     hidden_group_size_z
      - .offset:         58
        .size:           2
        .value_kind:     hidden_remainder_x
      - .offset:         60
        .size:           2
        .value_kind:     hidden_remainder_y
      - .offset:         62
        .size:           2
        .value_kind:     hidden_remainder_z
      - .offset:         80
        .size:           8
        .value_kind:     hidden_global_offset_x
      - .offset:         88
        .size:           8
        .value_kind:     hidden_global_offset_y
      - .offset:         96
        .size:           8
        .value_kind:     hidden_global_offset_z
      - .offset:         104
        .size:           2
        .value_kind:     hidden_grid_dims
    .group_segment_fixed_size: 0
    .kernarg_segment_align: 8
    .kernarg_segment_size: 296
    .language:       OpenCL C
    .language_version:
      - 2
      - 0
    .max_flat_workgroup_size: 256
    .name:           _ZN7rocprim17ROCPRIM_400000_NS6detail31init_lookback_scan_state_kernelINS1_19lookback_scan_stateIjLb1ELb1EEENS1_16block_id_wrapperIjLb1EEEEEvT_jT0_jPNS7_10value_typeE
    .private_segment_fixed_size: 0
    .sgpr_count:     20
    .sgpr_spill_count: 0
    .symbol:         _ZN7rocprim17ROCPRIM_400000_NS6detail31init_lookback_scan_state_kernelINS1_19lookback_scan_stateIjLb1ELb1EEENS1_16block_id_wrapperIjLb1EEEEEvT_jT0_jPNS7_10value_typeE.kd
    .uniform_work_group_size: 1
    .uses_dynamic_stack: false
    .vgpr_count:     6
    .vgpr_spill_count: 0
    .wavefront_size: 64
  - .agpr_count:     0
    .args:
      - .offset:         0
        .size:           128
        .value_kind:     by_value
    .group_segment_fixed_size: 0
    .kernarg_segment_align: 8
    .kernarg_segment_size: 128
    .language:       OpenCL C
    .language_version:
      - 2
      - 0
    .max_flat_workgroup_size: 512
    .name:           _ZN7rocprim17ROCPRIM_400000_NS6detail17trampoline_kernelINS0_14default_configENS1_25partition_config_selectorILNS1_17partition_subalgoE8EN6thrust23THRUST_200600_302600_NS5tupleIffNS7_9null_typeES9_S9_S9_S9_S9_S9_S9_EENS0_10empty_typeEbEEZZNS1_14partition_implILS5_8ELb0ES3_jNS7_6detail15normal_iteratorINS7_10device_ptrISA_EEEEPSB_PKSB_NS0_5tupleIJSI_SB_EEENSM_IJSJ_SJ_EEENS0_18inequality_wrapperINS7_8equal_toISA_EEEEPmJSB_EEE10hipError_tPvRmT3_T4_T5_T6_T7_T9_mT8_P12ihipStream_tbDpT10_ENKUlT_T0_E_clISt17integral_constantIbLb1EES1D_EEDaS18_S19_EUlS18_E_NS1_11comp_targetILNS1_3genE0ELNS1_11target_archE4294967295ELNS1_3gpuE0ELNS1_3repE0EEENS1_30default_config_static_selectorELNS0_4arch9wavefront6targetE1EEEvT1_
    .private_segment_fixed_size: 0
    .sgpr_count:     6
    .sgpr_spill_count: 0
    .symbol:         _ZN7rocprim17ROCPRIM_400000_NS6detail17trampoline_kernelINS0_14default_configENS1_25partition_config_selectorILNS1_17partition_subalgoE8EN6thrust23THRUST_200600_302600_NS5tupleIffNS7_9null_typeES9_S9_S9_S9_S9_S9_S9_EENS0_10empty_typeEbEEZZNS1_14partition_implILS5_8ELb0ES3_jNS7_6detail15normal_iteratorINS7_10device_ptrISA_EEEEPSB_PKSB_NS0_5tupleIJSI_SB_EEENSM_IJSJ_SJ_EEENS0_18inequality_wrapperINS7_8equal_toISA_EEEEPmJSB_EEE10hipError_tPvRmT3_T4_T5_T6_T7_T9_mT8_P12ihipStream_tbDpT10_ENKUlT_T0_E_clISt17integral_constantIbLb1EES1D_EEDaS18_S19_EUlS18_E_NS1_11comp_targetILNS1_3genE0ELNS1_11target_archE4294967295ELNS1_3gpuE0ELNS1_3repE0EEENS1_30default_config_static_selectorELNS0_4arch9wavefront6targetE1EEEvT1_.kd
    .uniform_work_group_size: 1
    .uses_dynamic_stack: false
    .vgpr_count:     0
    .vgpr_spill_count: 0
    .wavefront_size: 64
  - .agpr_count:     0
    .args:
      - .offset:         0
        .size:           128
        .value_kind:     by_value
    .group_segment_fixed_size: 28680
    .kernarg_segment_align: 8
    .kernarg_segment_size: 128
    .language:       OpenCL C
    .language_version:
      - 2
      - 0
    .max_flat_workgroup_size: 512
    .name:           _ZN7rocprim17ROCPRIM_400000_NS6detail17trampoline_kernelINS0_14default_configENS1_25partition_config_selectorILNS1_17partition_subalgoE8EN6thrust23THRUST_200600_302600_NS5tupleIffNS7_9null_typeES9_S9_S9_S9_S9_S9_S9_EENS0_10empty_typeEbEEZZNS1_14partition_implILS5_8ELb0ES3_jNS7_6detail15normal_iteratorINS7_10device_ptrISA_EEEEPSB_PKSB_NS0_5tupleIJSI_SB_EEENSM_IJSJ_SJ_EEENS0_18inequality_wrapperINS7_8equal_toISA_EEEEPmJSB_EEE10hipError_tPvRmT3_T4_T5_T6_T7_T9_mT8_P12ihipStream_tbDpT10_ENKUlT_T0_E_clISt17integral_constantIbLb1EES1D_EEDaS18_S19_EUlS18_E_NS1_11comp_targetILNS1_3genE5ELNS1_11target_archE942ELNS1_3gpuE9ELNS1_3repE0EEENS1_30default_config_static_selectorELNS0_4arch9wavefront6targetE1EEEvT1_
    .private_segment_fixed_size: 0
    .sgpr_count:     53
    .sgpr_spill_count: 0
    .symbol:         _ZN7rocprim17ROCPRIM_400000_NS6detail17trampoline_kernelINS0_14default_configENS1_25partition_config_selectorILNS1_17partition_subalgoE8EN6thrust23THRUST_200600_302600_NS5tupleIffNS7_9null_typeES9_S9_S9_S9_S9_S9_S9_EENS0_10empty_typeEbEEZZNS1_14partition_implILS5_8ELb0ES3_jNS7_6detail15normal_iteratorINS7_10device_ptrISA_EEEEPSB_PKSB_NS0_5tupleIJSI_SB_EEENSM_IJSJ_SJ_EEENS0_18inequality_wrapperINS7_8equal_toISA_EEEEPmJSB_EEE10hipError_tPvRmT3_T4_T5_T6_T7_T9_mT8_P12ihipStream_tbDpT10_ENKUlT_T0_E_clISt17integral_constantIbLb1EES1D_EEDaS18_S19_EUlS18_E_NS1_11comp_targetILNS1_3genE5ELNS1_11target_archE942ELNS1_3gpuE9ELNS1_3repE0EEENS1_30default_config_static_selectorELNS0_4arch9wavefront6targetE1EEEvT1_.kd
    .uniform_work_group_size: 1
    .uses_dynamic_stack: false
    .vgpr_count:     74
    .vgpr_spill_count: 0
    .wavefront_size: 64
  - .agpr_count:     0
    .args:
      - .offset:         0
        .size:           128
        .value_kind:     by_value
    .group_segment_fixed_size: 0
    .kernarg_segment_align: 8
    .kernarg_segment_size: 128
    .language:       OpenCL C
    .language_version:
      - 2
      - 0
    .max_flat_workgroup_size: 256
    .name:           _ZN7rocprim17ROCPRIM_400000_NS6detail17trampoline_kernelINS0_14default_configENS1_25partition_config_selectorILNS1_17partition_subalgoE8EN6thrust23THRUST_200600_302600_NS5tupleIffNS7_9null_typeES9_S9_S9_S9_S9_S9_S9_EENS0_10empty_typeEbEEZZNS1_14partition_implILS5_8ELb0ES3_jNS7_6detail15normal_iteratorINS7_10device_ptrISA_EEEEPSB_PKSB_NS0_5tupleIJSI_SB_EEENSM_IJSJ_SJ_EEENS0_18inequality_wrapperINS7_8equal_toISA_EEEEPmJSB_EEE10hipError_tPvRmT3_T4_T5_T6_T7_T9_mT8_P12ihipStream_tbDpT10_ENKUlT_T0_E_clISt17integral_constantIbLb1EES1D_EEDaS18_S19_EUlS18_E_NS1_11comp_targetILNS1_3genE4ELNS1_11target_archE910ELNS1_3gpuE8ELNS1_3repE0EEENS1_30default_config_static_selectorELNS0_4arch9wavefront6targetE1EEEvT1_
    .private_segment_fixed_size: 0
    .sgpr_count:     6
    .sgpr_spill_count: 0
    .symbol:         _ZN7rocprim17ROCPRIM_400000_NS6detail17trampoline_kernelINS0_14default_configENS1_25partition_config_selectorILNS1_17partition_subalgoE8EN6thrust23THRUST_200600_302600_NS5tupleIffNS7_9null_typeES9_S9_S9_S9_S9_S9_S9_EENS0_10empty_typeEbEEZZNS1_14partition_implILS5_8ELb0ES3_jNS7_6detail15normal_iteratorINS7_10device_ptrISA_EEEEPSB_PKSB_NS0_5tupleIJSI_SB_EEENSM_IJSJ_SJ_EEENS0_18inequality_wrapperINS7_8equal_toISA_EEEEPmJSB_EEE10hipError_tPvRmT3_T4_T5_T6_T7_T9_mT8_P12ihipStream_tbDpT10_ENKUlT_T0_E_clISt17integral_constantIbLb1EES1D_EEDaS18_S19_EUlS18_E_NS1_11comp_targetILNS1_3genE4ELNS1_11target_archE910ELNS1_3gpuE8ELNS1_3repE0EEENS1_30default_config_static_selectorELNS0_4arch9wavefront6targetE1EEEvT1_.kd
    .uniform_work_group_size: 1
    .uses_dynamic_stack: false
    .vgpr_count:     0
    .vgpr_spill_count: 0
    .wavefront_size: 64
  - .agpr_count:     0
    .args:
      - .offset:         0
        .size:           128
        .value_kind:     by_value
    .group_segment_fixed_size: 0
    .kernarg_segment_align: 8
    .kernarg_segment_size: 128
    .language:       OpenCL C
    .language_version:
      - 2
      - 0
    .max_flat_workgroup_size: 512
    .name:           _ZN7rocprim17ROCPRIM_400000_NS6detail17trampoline_kernelINS0_14default_configENS1_25partition_config_selectorILNS1_17partition_subalgoE8EN6thrust23THRUST_200600_302600_NS5tupleIffNS7_9null_typeES9_S9_S9_S9_S9_S9_S9_EENS0_10empty_typeEbEEZZNS1_14partition_implILS5_8ELb0ES3_jNS7_6detail15normal_iteratorINS7_10device_ptrISA_EEEEPSB_PKSB_NS0_5tupleIJSI_SB_EEENSM_IJSJ_SJ_EEENS0_18inequality_wrapperINS7_8equal_toISA_EEEEPmJSB_EEE10hipError_tPvRmT3_T4_T5_T6_T7_T9_mT8_P12ihipStream_tbDpT10_ENKUlT_T0_E_clISt17integral_constantIbLb1EES1D_EEDaS18_S19_EUlS18_E_NS1_11comp_targetILNS1_3genE3ELNS1_11target_archE908ELNS1_3gpuE7ELNS1_3repE0EEENS1_30default_config_static_selectorELNS0_4arch9wavefront6targetE1EEEvT1_
    .private_segment_fixed_size: 0
    .sgpr_count:     6
    .sgpr_spill_count: 0
    .symbol:         _ZN7rocprim17ROCPRIM_400000_NS6detail17trampoline_kernelINS0_14default_configENS1_25partition_config_selectorILNS1_17partition_subalgoE8EN6thrust23THRUST_200600_302600_NS5tupleIffNS7_9null_typeES9_S9_S9_S9_S9_S9_S9_EENS0_10empty_typeEbEEZZNS1_14partition_implILS5_8ELb0ES3_jNS7_6detail15normal_iteratorINS7_10device_ptrISA_EEEEPSB_PKSB_NS0_5tupleIJSI_SB_EEENSM_IJSJ_SJ_EEENS0_18inequality_wrapperINS7_8equal_toISA_EEEEPmJSB_EEE10hipError_tPvRmT3_T4_T5_T6_T7_T9_mT8_P12ihipStream_tbDpT10_ENKUlT_T0_E_clISt17integral_constantIbLb1EES1D_EEDaS18_S19_EUlS18_E_NS1_11comp_targetILNS1_3genE3ELNS1_11target_archE908ELNS1_3gpuE7ELNS1_3repE0EEENS1_30default_config_static_selectorELNS0_4arch9wavefront6targetE1EEEvT1_.kd
    .uniform_work_group_size: 1
    .uses_dynamic_stack: false
    .vgpr_count:     0
    .vgpr_spill_count: 0
    .wavefront_size: 64
  - .agpr_count:     0
    .args:
      - .offset:         0
        .size:           128
        .value_kind:     by_value
    .group_segment_fixed_size: 0
    .kernarg_segment_align: 8
    .kernarg_segment_size: 128
    .language:       OpenCL C
    .language_version:
      - 2
      - 0
    .max_flat_workgroup_size: 256
    .name:           _ZN7rocprim17ROCPRIM_400000_NS6detail17trampoline_kernelINS0_14default_configENS1_25partition_config_selectorILNS1_17partition_subalgoE8EN6thrust23THRUST_200600_302600_NS5tupleIffNS7_9null_typeES9_S9_S9_S9_S9_S9_S9_EENS0_10empty_typeEbEEZZNS1_14partition_implILS5_8ELb0ES3_jNS7_6detail15normal_iteratorINS7_10device_ptrISA_EEEEPSB_PKSB_NS0_5tupleIJSI_SB_EEENSM_IJSJ_SJ_EEENS0_18inequality_wrapperINS7_8equal_toISA_EEEEPmJSB_EEE10hipError_tPvRmT3_T4_T5_T6_T7_T9_mT8_P12ihipStream_tbDpT10_ENKUlT_T0_E_clISt17integral_constantIbLb1EES1D_EEDaS18_S19_EUlS18_E_NS1_11comp_targetILNS1_3genE2ELNS1_11target_archE906ELNS1_3gpuE6ELNS1_3repE0EEENS1_30default_config_static_selectorELNS0_4arch9wavefront6targetE1EEEvT1_
    .private_segment_fixed_size: 0
    .sgpr_count:     6
    .sgpr_spill_count: 0
    .symbol:         _ZN7rocprim17ROCPRIM_400000_NS6detail17trampoline_kernelINS0_14default_configENS1_25partition_config_selectorILNS1_17partition_subalgoE8EN6thrust23THRUST_200600_302600_NS5tupleIffNS7_9null_typeES9_S9_S9_S9_S9_S9_S9_EENS0_10empty_typeEbEEZZNS1_14partition_implILS5_8ELb0ES3_jNS7_6detail15normal_iteratorINS7_10device_ptrISA_EEEEPSB_PKSB_NS0_5tupleIJSI_SB_EEENSM_IJSJ_SJ_EEENS0_18inequality_wrapperINS7_8equal_toISA_EEEEPmJSB_EEE10hipError_tPvRmT3_T4_T5_T6_T7_T9_mT8_P12ihipStream_tbDpT10_ENKUlT_T0_E_clISt17integral_constantIbLb1EES1D_EEDaS18_S19_EUlS18_E_NS1_11comp_targetILNS1_3genE2ELNS1_11target_archE906ELNS1_3gpuE6ELNS1_3repE0EEENS1_30default_config_static_selectorELNS0_4arch9wavefront6targetE1EEEvT1_.kd
    .uniform_work_group_size: 1
    .uses_dynamic_stack: false
    .vgpr_count:     0
    .vgpr_spill_count: 0
    .wavefront_size: 64
  - .agpr_count:     0
    .args:
      - .offset:         0
        .size:           128
        .value_kind:     by_value
    .group_segment_fixed_size: 0
    .kernarg_segment_align: 8
    .kernarg_segment_size: 128
    .language:       OpenCL C
    .language_version:
      - 2
      - 0
    .max_flat_workgroup_size: 384
    .name:           _ZN7rocprim17ROCPRIM_400000_NS6detail17trampoline_kernelINS0_14default_configENS1_25partition_config_selectorILNS1_17partition_subalgoE8EN6thrust23THRUST_200600_302600_NS5tupleIffNS7_9null_typeES9_S9_S9_S9_S9_S9_S9_EENS0_10empty_typeEbEEZZNS1_14partition_implILS5_8ELb0ES3_jNS7_6detail15normal_iteratorINS7_10device_ptrISA_EEEEPSB_PKSB_NS0_5tupleIJSI_SB_EEENSM_IJSJ_SJ_EEENS0_18inequality_wrapperINS7_8equal_toISA_EEEEPmJSB_EEE10hipError_tPvRmT3_T4_T5_T6_T7_T9_mT8_P12ihipStream_tbDpT10_ENKUlT_T0_E_clISt17integral_constantIbLb1EES1D_EEDaS18_S19_EUlS18_E_NS1_11comp_targetILNS1_3genE10ELNS1_11target_archE1200ELNS1_3gpuE4ELNS1_3repE0EEENS1_30default_config_static_selectorELNS0_4arch9wavefront6targetE1EEEvT1_
    .private_segment_fixed_size: 0
    .sgpr_count:     6
    .sgpr_spill_count: 0
    .symbol:         _ZN7rocprim17ROCPRIM_400000_NS6detail17trampoline_kernelINS0_14default_configENS1_25partition_config_selectorILNS1_17partition_subalgoE8EN6thrust23THRUST_200600_302600_NS5tupleIffNS7_9null_typeES9_S9_S9_S9_S9_S9_S9_EENS0_10empty_typeEbEEZZNS1_14partition_implILS5_8ELb0ES3_jNS7_6detail15normal_iteratorINS7_10device_ptrISA_EEEEPSB_PKSB_NS0_5tupleIJSI_SB_EEENSM_IJSJ_SJ_EEENS0_18inequality_wrapperINS7_8equal_toISA_EEEEPmJSB_EEE10hipError_tPvRmT3_T4_T5_T6_T7_T9_mT8_P12ihipStream_tbDpT10_ENKUlT_T0_E_clISt17integral_constantIbLb1EES1D_EEDaS18_S19_EUlS18_E_NS1_11comp_targetILNS1_3genE10ELNS1_11target_archE1200ELNS1_3gpuE4ELNS1_3repE0EEENS1_30default_config_static_selectorELNS0_4arch9wavefront6targetE1EEEvT1_.kd
    .uniform_work_group_size: 1
    .uses_dynamic_stack: false
    .vgpr_count:     0
    .vgpr_spill_count: 0
    .wavefront_size: 64
  - .agpr_count:     0
    .args:
      - .offset:         0
        .size:           128
        .value_kind:     by_value
    .group_segment_fixed_size: 0
    .kernarg_segment_align: 8
    .kernarg_segment_size: 128
    .language:       OpenCL C
    .language_version:
      - 2
      - 0
    .max_flat_workgroup_size: 512
    .name:           _ZN7rocprim17ROCPRIM_400000_NS6detail17trampoline_kernelINS0_14default_configENS1_25partition_config_selectorILNS1_17partition_subalgoE8EN6thrust23THRUST_200600_302600_NS5tupleIffNS7_9null_typeES9_S9_S9_S9_S9_S9_S9_EENS0_10empty_typeEbEEZZNS1_14partition_implILS5_8ELb0ES3_jNS7_6detail15normal_iteratorINS7_10device_ptrISA_EEEEPSB_PKSB_NS0_5tupleIJSI_SB_EEENSM_IJSJ_SJ_EEENS0_18inequality_wrapperINS7_8equal_toISA_EEEEPmJSB_EEE10hipError_tPvRmT3_T4_T5_T6_T7_T9_mT8_P12ihipStream_tbDpT10_ENKUlT_T0_E_clISt17integral_constantIbLb1EES1D_EEDaS18_S19_EUlS18_E_NS1_11comp_targetILNS1_3genE9ELNS1_11target_archE1100ELNS1_3gpuE3ELNS1_3repE0EEENS1_30default_config_static_selectorELNS0_4arch9wavefront6targetE1EEEvT1_
    .private_segment_fixed_size: 0
    .sgpr_count:     6
    .sgpr_spill_count: 0
    .symbol:         _ZN7rocprim17ROCPRIM_400000_NS6detail17trampoline_kernelINS0_14default_configENS1_25partition_config_selectorILNS1_17partition_subalgoE8EN6thrust23THRUST_200600_302600_NS5tupleIffNS7_9null_typeES9_S9_S9_S9_S9_S9_S9_EENS0_10empty_typeEbEEZZNS1_14partition_implILS5_8ELb0ES3_jNS7_6detail15normal_iteratorINS7_10device_ptrISA_EEEEPSB_PKSB_NS0_5tupleIJSI_SB_EEENSM_IJSJ_SJ_EEENS0_18inequality_wrapperINS7_8equal_toISA_EEEEPmJSB_EEE10hipError_tPvRmT3_T4_T5_T6_T7_T9_mT8_P12ihipStream_tbDpT10_ENKUlT_T0_E_clISt17integral_constantIbLb1EES1D_EEDaS18_S19_EUlS18_E_NS1_11comp_targetILNS1_3genE9ELNS1_11target_archE1100ELNS1_3gpuE3ELNS1_3repE0EEENS1_30default_config_static_selectorELNS0_4arch9wavefront6targetE1EEEvT1_.kd
    .uniform_work_group_size: 1
    .uses_dynamic_stack: false
    .vgpr_count:     0
    .vgpr_spill_count: 0
    .wavefront_size: 64
  - .agpr_count:     0
    .args:
      - .offset:         0
        .size:           128
        .value_kind:     by_value
    .group_segment_fixed_size: 0
    .kernarg_segment_align: 8
    .kernarg_segment_size: 128
    .language:       OpenCL C
    .language_version:
      - 2
      - 0
    .max_flat_workgroup_size: 512
    .name:           _ZN7rocprim17ROCPRIM_400000_NS6detail17trampoline_kernelINS0_14default_configENS1_25partition_config_selectorILNS1_17partition_subalgoE8EN6thrust23THRUST_200600_302600_NS5tupleIffNS7_9null_typeES9_S9_S9_S9_S9_S9_S9_EENS0_10empty_typeEbEEZZNS1_14partition_implILS5_8ELb0ES3_jNS7_6detail15normal_iteratorINS7_10device_ptrISA_EEEEPSB_PKSB_NS0_5tupleIJSI_SB_EEENSM_IJSJ_SJ_EEENS0_18inequality_wrapperINS7_8equal_toISA_EEEEPmJSB_EEE10hipError_tPvRmT3_T4_T5_T6_T7_T9_mT8_P12ihipStream_tbDpT10_ENKUlT_T0_E_clISt17integral_constantIbLb1EES1D_EEDaS18_S19_EUlS18_E_NS1_11comp_targetILNS1_3genE8ELNS1_11target_archE1030ELNS1_3gpuE2ELNS1_3repE0EEENS1_30default_config_static_selectorELNS0_4arch9wavefront6targetE1EEEvT1_
    .private_segment_fixed_size: 0
    .sgpr_count:     6
    .sgpr_spill_count: 0
    .symbol:         _ZN7rocprim17ROCPRIM_400000_NS6detail17trampoline_kernelINS0_14default_configENS1_25partition_config_selectorILNS1_17partition_subalgoE8EN6thrust23THRUST_200600_302600_NS5tupleIffNS7_9null_typeES9_S9_S9_S9_S9_S9_S9_EENS0_10empty_typeEbEEZZNS1_14partition_implILS5_8ELb0ES3_jNS7_6detail15normal_iteratorINS7_10device_ptrISA_EEEEPSB_PKSB_NS0_5tupleIJSI_SB_EEENSM_IJSJ_SJ_EEENS0_18inequality_wrapperINS7_8equal_toISA_EEEEPmJSB_EEE10hipError_tPvRmT3_T4_T5_T6_T7_T9_mT8_P12ihipStream_tbDpT10_ENKUlT_T0_E_clISt17integral_constantIbLb1EES1D_EEDaS18_S19_EUlS18_E_NS1_11comp_targetILNS1_3genE8ELNS1_11target_archE1030ELNS1_3gpuE2ELNS1_3repE0EEENS1_30default_config_static_selectorELNS0_4arch9wavefront6targetE1EEEvT1_.kd
    .uniform_work_group_size: 1
    .uses_dynamic_stack: false
    .vgpr_count:     0
    .vgpr_spill_count: 0
    .wavefront_size: 64
  - .agpr_count:     0
    .args:
      - .address_space:  global
        .offset:         0
        .size:           8
        .value_kind:     global_buffer
      - .offset:         8
        .size:           4
        .value_kind:     by_value
      - .offset:         12
        .size:           1
        .value_kind:     by_value
      - .offset:         16
        .size:           4
        .value_kind:     by_value
      - .address_space:  global
        .offset:         24
        .size:           8
        .value_kind:     global_buffer
      - .offset:         32
        .size:           4
        .value_kind:     hidden_block_count_x
      - .offset:         36
        .size:           4
        .value_kind:     hidden_block_count_y
      - .offset:         40
        .size:           4
        .value_kind:     hidden_block_count_z
      - .offset:         44
        .size:           2
        .value_kind:     hidden_group_size_x
      - .offset:         46
        .size:           2
        .value_kind:     hidden_group_size_y
      - .offset:         48
        .size:           2
        .value_kind:     hidden_group_size_z
      - .offset:         50
        .size:           2
        .value_kind:     hidden_remainder_x
      - .offset:         52
        .size:           2
        .value_kind:     hidden_remainder_y
      - .offset:         54
        .size:           2
        .value_kind:     hidden_remainder_z
      - .offset:         72
        .size:           8
        .value_kind:     hidden_global_offset_x
      - .offset:         80
        .size:           8
        .value_kind:     hidden_global_offset_y
      - .offset:         88
        .size:           8
        .value_kind:     hidden_global_offset_z
      - .offset:         96
        .size:           2
        .value_kind:     hidden_grid_dims
    .group_segment_fixed_size: 0
    .kernarg_segment_align: 8
    .kernarg_segment_size: 288
    .language:       OpenCL C
    .language_version:
      - 2
      - 0
    .max_flat_workgroup_size: 256
    .name:           _ZN7rocprim17ROCPRIM_400000_NS6detail31init_lookback_scan_state_kernelINS1_19lookback_scan_stateIjLb1ELb1EEENS1_16block_id_wrapperIjLb0EEEEEvT_jT0_jPNS7_10value_typeE
    .private_segment_fixed_size: 0
    .sgpr_count:     18
    .sgpr_spill_count: 0
    .symbol:         _ZN7rocprim17ROCPRIM_400000_NS6detail31init_lookback_scan_state_kernelINS1_19lookback_scan_stateIjLb1ELb1EEENS1_16block_id_wrapperIjLb0EEEEEvT_jT0_jPNS7_10value_typeE.kd
    .uniform_work_group_size: 1
    .uses_dynamic_stack: false
    .vgpr_count:     6
    .vgpr_spill_count: 0
    .wavefront_size: 64
  - .agpr_count:     0
    .args:
      - .offset:         0
        .size:           112
        .value_kind:     by_value
    .group_segment_fixed_size: 0
    .kernarg_segment_align: 8
    .kernarg_segment_size: 112
    .language:       OpenCL C
    .language_version:
      - 2
      - 0
    .max_flat_workgroup_size: 512
    .name:           _ZN7rocprim17ROCPRIM_400000_NS6detail17trampoline_kernelINS0_14default_configENS1_25partition_config_selectorILNS1_17partition_subalgoE8EN6thrust23THRUST_200600_302600_NS5tupleIffNS7_9null_typeES9_S9_S9_S9_S9_S9_S9_EENS0_10empty_typeEbEEZZNS1_14partition_implILS5_8ELb0ES3_jNS7_6detail15normal_iteratorINS7_10device_ptrISA_EEEEPSB_PKSB_NS0_5tupleIJSI_SB_EEENSM_IJSJ_SJ_EEENS0_18inequality_wrapperINS7_8equal_toISA_EEEEPmJSB_EEE10hipError_tPvRmT3_T4_T5_T6_T7_T9_mT8_P12ihipStream_tbDpT10_ENKUlT_T0_E_clISt17integral_constantIbLb1EES1C_IbLb0EEEEDaS18_S19_EUlS18_E_NS1_11comp_targetILNS1_3genE0ELNS1_11target_archE4294967295ELNS1_3gpuE0ELNS1_3repE0EEENS1_30default_config_static_selectorELNS0_4arch9wavefront6targetE1EEEvT1_
    .private_segment_fixed_size: 0
    .sgpr_count:     6
    .sgpr_spill_count: 0
    .symbol:         _ZN7rocprim17ROCPRIM_400000_NS6detail17trampoline_kernelINS0_14default_configENS1_25partition_config_selectorILNS1_17partition_subalgoE8EN6thrust23THRUST_200600_302600_NS5tupleIffNS7_9null_typeES9_S9_S9_S9_S9_S9_S9_EENS0_10empty_typeEbEEZZNS1_14partition_implILS5_8ELb0ES3_jNS7_6detail15normal_iteratorINS7_10device_ptrISA_EEEEPSB_PKSB_NS0_5tupleIJSI_SB_EEENSM_IJSJ_SJ_EEENS0_18inequality_wrapperINS7_8equal_toISA_EEEEPmJSB_EEE10hipError_tPvRmT3_T4_T5_T6_T7_T9_mT8_P12ihipStream_tbDpT10_ENKUlT_T0_E_clISt17integral_constantIbLb1EES1C_IbLb0EEEEDaS18_S19_EUlS18_E_NS1_11comp_targetILNS1_3genE0ELNS1_11target_archE4294967295ELNS1_3gpuE0ELNS1_3repE0EEENS1_30default_config_static_selectorELNS0_4arch9wavefront6targetE1EEEvT1_.kd
    .uniform_work_group_size: 1
    .uses_dynamic_stack: false
    .vgpr_count:     0
    .vgpr_spill_count: 0
    .wavefront_size: 64
  - .agpr_count:     0
    .args:
      - .offset:         0
        .size:           112
        .value_kind:     by_value
    .group_segment_fixed_size: 28680
    .kernarg_segment_align: 8
    .kernarg_segment_size: 112
    .language:       OpenCL C
    .language_version:
      - 2
      - 0
    .max_flat_workgroup_size: 512
    .name:           _ZN7rocprim17ROCPRIM_400000_NS6detail17trampoline_kernelINS0_14default_configENS1_25partition_config_selectorILNS1_17partition_subalgoE8EN6thrust23THRUST_200600_302600_NS5tupleIffNS7_9null_typeES9_S9_S9_S9_S9_S9_S9_EENS0_10empty_typeEbEEZZNS1_14partition_implILS5_8ELb0ES3_jNS7_6detail15normal_iteratorINS7_10device_ptrISA_EEEEPSB_PKSB_NS0_5tupleIJSI_SB_EEENSM_IJSJ_SJ_EEENS0_18inequality_wrapperINS7_8equal_toISA_EEEEPmJSB_EEE10hipError_tPvRmT3_T4_T5_T6_T7_T9_mT8_P12ihipStream_tbDpT10_ENKUlT_T0_E_clISt17integral_constantIbLb1EES1C_IbLb0EEEEDaS18_S19_EUlS18_E_NS1_11comp_targetILNS1_3genE5ELNS1_11target_archE942ELNS1_3gpuE9ELNS1_3repE0EEENS1_30default_config_static_selectorELNS0_4arch9wavefront6targetE1EEEvT1_
    .private_segment_fixed_size: 0
    .sgpr_count:     50
    .sgpr_spill_count: 0
    .symbol:         _ZN7rocprim17ROCPRIM_400000_NS6detail17trampoline_kernelINS0_14default_configENS1_25partition_config_selectorILNS1_17partition_subalgoE8EN6thrust23THRUST_200600_302600_NS5tupleIffNS7_9null_typeES9_S9_S9_S9_S9_S9_S9_EENS0_10empty_typeEbEEZZNS1_14partition_implILS5_8ELb0ES3_jNS7_6detail15normal_iteratorINS7_10device_ptrISA_EEEEPSB_PKSB_NS0_5tupleIJSI_SB_EEENSM_IJSJ_SJ_EEENS0_18inequality_wrapperINS7_8equal_toISA_EEEEPmJSB_EEE10hipError_tPvRmT3_T4_T5_T6_T7_T9_mT8_P12ihipStream_tbDpT10_ENKUlT_T0_E_clISt17integral_constantIbLb1EES1C_IbLb0EEEEDaS18_S19_EUlS18_E_NS1_11comp_targetILNS1_3genE5ELNS1_11target_archE942ELNS1_3gpuE9ELNS1_3repE0EEENS1_30default_config_static_selectorELNS0_4arch9wavefront6targetE1EEEvT1_.kd
    .uniform_work_group_size: 1
    .uses_dynamic_stack: false
    .vgpr_count:     72
    .vgpr_spill_count: 0
    .wavefront_size: 64
  - .agpr_count:     0
    .args:
      - .offset:         0
        .size:           112
        .value_kind:     by_value
    .group_segment_fixed_size: 0
    .kernarg_segment_align: 8
    .kernarg_segment_size: 112
    .language:       OpenCL C
    .language_version:
      - 2
      - 0
    .max_flat_workgroup_size: 256
    .name:           _ZN7rocprim17ROCPRIM_400000_NS6detail17trampoline_kernelINS0_14default_configENS1_25partition_config_selectorILNS1_17partition_subalgoE8EN6thrust23THRUST_200600_302600_NS5tupleIffNS7_9null_typeES9_S9_S9_S9_S9_S9_S9_EENS0_10empty_typeEbEEZZNS1_14partition_implILS5_8ELb0ES3_jNS7_6detail15normal_iteratorINS7_10device_ptrISA_EEEEPSB_PKSB_NS0_5tupleIJSI_SB_EEENSM_IJSJ_SJ_EEENS0_18inequality_wrapperINS7_8equal_toISA_EEEEPmJSB_EEE10hipError_tPvRmT3_T4_T5_T6_T7_T9_mT8_P12ihipStream_tbDpT10_ENKUlT_T0_E_clISt17integral_constantIbLb1EES1C_IbLb0EEEEDaS18_S19_EUlS18_E_NS1_11comp_targetILNS1_3genE4ELNS1_11target_archE910ELNS1_3gpuE8ELNS1_3repE0EEENS1_30default_config_static_selectorELNS0_4arch9wavefront6targetE1EEEvT1_
    .private_segment_fixed_size: 0
    .sgpr_count:     6
    .sgpr_spill_count: 0
    .symbol:         _ZN7rocprim17ROCPRIM_400000_NS6detail17trampoline_kernelINS0_14default_configENS1_25partition_config_selectorILNS1_17partition_subalgoE8EN6thrust23THRUST_200600_302600_NS5tupleIffNS7_9null_typeES9_S9_S9_S9_S9_S9_S9_EENS0_10empty_typeEbEEZZNS1_14partition_implILS5_8ELb0ES3_jNS7_6detail15normal_iteratorINS7_10device_ptrISA_EEEEPSB_PKSB_NS0_5tupleIJSI_SB_EEENSM_IJSJ_SJ_EEENS0_18inequality_wrapperINS7_8equal_toISA_EEEEPmJSB_EEE10hipError_tPvRmT3_T4_T5_T6_T7_T9_mT8_P12ihipStream_tbDpT10_ENKUlT_T0_E_clISt17integral_constantIbLb1EES1C_IbLb0EEEEDaS18_S19_EUlS18_E_NS1_11comp_targetILNS1_3genE4ELNS1_11target_archE910ELNS1_3gpuE8ELNS1_3repE0EEENS1_30default_config_static_selectorELNS0_4arch9wavefront6targetE1EEEvT1_.kd
    .uniform_work_group_size: 1
    .uses_dynamic_stack: false
    .vgpr_count:     0
    .vgpr_spill_count: 0
    .wavefront_size: 64
  - .agpr_count:     0
    .args:
      - .offset:         0
        .size:           112
        .value_kind:     by_value
    .group_segment_fixed_size: 0
    .kernarg_segment_align: 8
    .kernarg_segment_size: 112
    .language:       OpenCL C
    .language_version:
      - 2
      - 0
    .max_flat_workgroup_size: 512
    .name:           _ZN7rocprim17ROCPRIM_400000_NS6detail17trampoline_kernelINS0_14default_configENS1_25partition_config_selectorILNS1_17partition_subalgoE8EN6thrust23THRUST_200600_302600_NS5tupleIffNS7_9null_typeES9_S9_S9_S9_S9_S9_S9_EENS0_10empty_typeEbEEZZNS1_14partition_implILS5_8ELb0ES3_jNS7_6detail15normal_iteratorINS7_10device_ptrISA_EEEEPSB_PKSB_NS0_5tupleIJSI_SB_EEENSM_IJSJ_SJ_EEENS0_18inequality_wrapperINS7_8equal_toISA_EEEEPmJSB_EEE10hipError_tPvRmT3_T4_T5_T6_T7_T9_mT8_P12ihipStream_tbDpT10_ENKUlT_T0_E_clISt17integral_constantIbLb1EES1C_IbLb0EEEEDaS18_S19_EUlS18_E_NS1_11comp_targetILNS1_3genE3ELNS1_11target_archE908ELNS1_3gpuE7ELNS1_3repE0EEENS1_30default_config_static_selectorELNS0_4arch9wavefront6targetE1EEEvT1_
    .private_segment_fixed_size: 0
    .sgpr_count:     6
    .sgpr_spill_count: 0
    .symbol:         _ZN7rocprim17ROCPRIM_400000_NS6detail17trampoline_kernelINS0_14default_configENS1_25partition_config_selectorILNS1_17partition_subalgoE8EN6thrust23THRUST_200600_302600_NS5tupleIffNS7_9null_typeES9_S9_S9_S9_S9_S9_S9_EENS0_10empty_typeEbEEZZNS1_14partition_implILS5_8ELb0ES3_jNS7_6detail15normal_iteratorINS7_10device_ptrISA_EEEEPSB_PKSB_NS0_5tupleIJSI_SB_EEENSM_IJSJ_SJ_EEENS0_18inequality_wrapperINS7_8equal_toISA_EEEEPmJSB_EEE10hipError_tPvRmT3_T4_T5_T6_T7_T9_mT8_P12ihipStream_tbDpT10_ENKUlT_T0_E_clISt17integral_constantIbLb1EES1C_IbLb0EEEEDaS18_S19_EUlS18_E_NS1_11comp_targetILNS1_3genE3ELNS1_11target_archE908ELNS1_3gpuE7ELNS1_3repE0EEENS1_30default_config_static_selectorELNS0_4arch9wavefront6targetE1EEEvT1_.kd
    .uniform_work_group_size: 1
    .uses_dynamic_stack: false
    .vgpr_count:     0
    .vgpr_spill_count: 0
    .wavefront_size: 64
  - .agpr_count:     0
    .args:
      - .offset:         0
        .size:           112
        .value_kind:     by_value
    .group_segment_fixed_size: 0
    .kernarg_segment_align: 8
    .kernarg_segment_size: 112
    .language:       OpenCL C
    .language_version:
      - 2
      - 0
    .max_flat_workgroup_size: 256
    .name:           _ZN7rocprim17ROCPRIM_400000_NS6detail17trampoline_kernelINS0_14default_configENS1_25partition_config_selectorILNS1_17partition_subalgoE8EN6thrust23THRUST_200600_302600_NS5tupleIffNS7_9null_typeES9_S9_S9_S9_S9_S9_S9_EENS0_10empty_typeEbEEZZNS1_14partition_implILS5_8ELb0ES3_jNS7_6detail15normal_iteratorINS7_10device_ptrISA_EEEEPSB_PKSB_NS0_5tupleIJSI_SB_EEENSM_IJSJ_SJ_EEENS0_18inequality_wrapperINS7_8equal_toISA_EEEEPmJSB_EEE10hipError_tPvRmT3_T4_T5_T6_T7_T9_mT8_P12ihipStream_tbDpT10_ENKUlT_T0_E_clISt17integral_constantIbLb1EES1C_IbLb0EEEEDaS18_S19_EUlS18_E_NS1_11comp_targetILNS1_3genE2ELNS1_11target_archE906ELNS1_3gpuE6ELNS1_3repE0EEENS1_30default_config_static_selectorELNS0_4arch9wavefront6targetE1EEEvT1_
    .private_segment_fixed_size: 0
    .sgpr_count:     6
    .sgpr_spill_count: 0
    .symbol:         _ZN7rocprim17ROCPRIM_400000_NS6detail17trampoline_kernelINS0_14default_configENS1_25partition_config_selectorILNS1_17partition_subalgoE8EN6thrust23THRUST_200600_302600_NS5tupleIffNS7_9null_typeES9_S9_S9_S9_S9_S9_S9_EENS0_10empty_typeEbEEZZNS1_14partition_implILS5_8ELb0ES3_jNS7_6detail15normal_iteratorINS7_10device_ptrISA_EEEEPSB_PKSB_NS0_5tupleIJSI_SB_EEENSM_IJSJ_SJ_EEENS0_18inequality_wrapperINS7_8equal_toISA_EEEEPmJSB_EEE10hipError_tPvRmT3_T4_T5_T6_T7_T9_mT8_P12ihipStream_tbDpT10_ENKUlT_T0_E_clISt17integral_constantIbLb1EES1C_IbLb0EEEEDaS18_S19_EUlS18_E_NS1_11comp_targetILNS1_3genE2ELNS1_11target_archE906ELNS1_3gpuE6ELNS1_3repE0EEENS1_30default_config_static_selectorELNS0_4arch9wavefront6targetE1EEEvT1_.kd
    .uniform_work_group_size: 1
    .uses_dynamic_stack: false
    .vgpr_count:     0
    .vgpr_spill_count: 0
    .wavefront_size: 64
  - .agpr_count:     0
    .args:
      - .offset:         0
        .size:           112
        .value_kind:     by_value
    .group_segment_fixed_size: 0
    .kernarg_segment_align: 8
    .kernarg_segment_size: 112
    .language:       OpenCL C
    .language_version:
      - 2
      - 0
    .max_flat_workgroup_size: 384
    .name:           _ZN7rocprim17ROCPRIM_400000_NS6detail17trampoline_kernelINS0_14default_configENS1_25partition_config_selectorILNS1_17partition_subalgoE8EN6thrust23THRUST_200600_302600_NS5tupleIffNS7_9null_typeES9_S9_S9_S9_S9_S9_S9_EENS0_10empty_typeEbEEZZNS1_14partition_implILS5_8ELb0ES3_jNS7_6detail15normal_iteratorINS7_10device_ptrISA_EEEEPSB_PKSB_NS0_5tupleIJSI_SB_EEENSM_IJSJ_SJ_EEENS0_18inequality_wrapperINS7_8equal_toISA_EEEEPmJSB_EEE10hipError_tPvRmT3_T4_T5_T6_T7_T9_mT8_P12ihipStream_tbDpT10_ENKUlT_T0_E_clISt17integral_constantIbLb1EES1C_IbLb0EEEEDaS18_S19_EUlS18_E_NS1_11comp_targetILNS1_3genE10ELNS1_11target_archE1200ELNS1_3gpuE4ELNS1_3repE0EEENS1_30default_config_static_selectorELNS0_4arch9wavefront6targetE1EEEvT1_
    .private_segment_fixed_size: 0
    .sgpr_count:     6
    .sgpr_spill_count: 0
    .symbol:         _ZN7rocprim17ROCPRIM_400000_NS6detail17trampoline_kernelINS0_14default_configENS1_25partition_config_selectorILNS1_17partition_subalgoE8EN6thrust23THRUST_200600_302600_NS5tupleIffNS7_9null_typeES9_S9_S9_S9_S9_S9_S9_EENS0_10empty_typeEbEEZZNS1_14partition_implILS5_8ELb0ES3_jNS7_6detail15normal_iteratorINS7_10device_ptrISA_EEEEPSB_PKSB_NS0_5tupleIJSI_SB_EEENSM_IJSJ_SJ_EEENS0_18inequality_wrapperINS7_8equal_toISA_EEEEPmJSB_EEE10hipError_tPvRmT3_T4_T5_T6_T7_T9_mT8_P12ihipStream_tbDpT10_ENKUlT_T0_E_clISt17integral_constantIbLb1EES1C_IbLb0EEEEDaS18_S19_EUlS18_E_NS1_11comp_targetILNS1_3genE10ELNS1_11target_archE1200ELNS1_3gpuE4ELNS1_3repE0EEENS1_30default_config_static_selectorELNS0_4arch9wavefront6targetE1EEEvT1_.kd
    .uniform_work_group_size: 1
    .uses_dynamic_stack: false
    .vgpr_count:     0
    .vgpr_spill_count: 0
    .wavefront_size: 64
  - .agpr_count:     0
    .args:
      - .offset:         0
        .size:           112
        .value_kind:     by_value
    .group_segment_fixed_size: 0
    .kernarg_segment_align: 8
    .kernarg_segment_size: 112
    .language:       OpenCL C
    .language_version:
      - 2
      - 0
    .max_flat_workgroup_size: 512
    .name:           _ZN7rocprim17ROCPRIM_400000_NS6detail17trampoline_kernelINS0_14default_configENS1_25partition_config_selectorILNS1_17partition_subalgoE8EN6thrust23THRUST_200600_302600_NS5tupleIffNS7_9null_typeES9_S9_S9_S9_S9_S9_S9_EENS0_10empty_typeEbEEZZNS1_14partition_implILS5_8ELb0ES3_jNS7_6detail15normal_iteratorINS7_10device_ptrISA_EEEEPSB_PKSB_NS0_5tupleIJSI_SB_EEENSM_IJSJ_SJ_EEENS0_18inequality_wrapperINS7_8equal_toISA_EEEEPmJSB_EEE10hipError_tPvRmT3_T4_T5_T6_T7_T9_mT8_P12ihipStream_tbDpT10_ENKUlT_T0_E_clISt17integral_constantIbLb1EES1C_IbLb0EEEEDaS18_S19_EUlS18_E_NS1_11comp_targetILNS1_3genE9ELNS1_11target_archE1100ELNS1_3gpuE3ELNS1_3repE0EEENS1_30default_config_static_selectorELNS0_4arch9wavefront6targetE1EEEvT1_
    .private_segment_fixed_size: 0
    .sgpr_count:     6
    .sgpr_spill_count: 0
    .symbol:         _ZN7rocprim17ROCPRIM_400000_NS6detail17trampoline_kernelINS0_14default_configENS1_25partition_config_selectorILNS1_17partition_subalgoE8EN6thrust23THRUST_200600_302600_NS5tupleIffNS7_9null_typeES9_S9_S9_S9_S9_S9_S9_EENS0_10empty_typeEbEEZZNS1_14partition_implILS5_8ELb0ES3_jNS7_6detail15normal_iteratorINS7_10device_ptrISA_EEEEPSB_PKSB_NS0_5tupleIJSI_SB_EEENSM_IJSJ_SJ_EEENS0_18inequality_wrapperINS7_8equal_toISA_EEEEPmJSB_EEE10hipError_tPvRmT3_T4_T5_T6_T7_T9_mT8_P12ihipStream_tbDpT10_ENKUlT_T0_E_clISt17integral_constantIbLb1EES1C_IbLb0EEEEDaS18_S19_EUlS18_E_NS1_11comp_targetILNS1_3genE9ELNS1_11target_archE1100ELNS1_3gpuE3ELNS1_3repE0EEENS1_30default_config_static_selectorELNS0_4arch9wavefront6targetE1EEEvT1_.kd
    .uniform_work_group_size: 1
    .uses_dynamic_stack: false
    .vgpr_count:     0
    .vgpr_spill_count: 0
    .wavefront_size: 64
  - .agpr_count:     0
    .args:
      - .offset:         0
        .size:           112
        .value_kind:     by_value
    .group_segment_fixed_size: 0
    .kernarg_segment_align: 8
    .kernarg_segment_size: 112
    .language:       OpenCL C
    .language_version:
      - 2
      - 0
    .max_flat_workgroup_size: 512
    .name:           _ZN7rocprim17ROCPRIM_400000_NS6detail17trampoline_kernelINS0_14default_configENS1_25partition_config_selectorILNS1_17partition_subalgoE8EN6thrust23THRUST_200600_302600_NS5tupleIffNS7_9null_typeES9_S9_S9_S9_S9_S9_S9_EENS0_10empty_typeEbEEZZNS1_14partition_implILS5_8ELb0ES3_jNS7_6detail15normal_iteratorINS7_10device_ptrISA_EEEEPSB_PKSB_NS0_5tupleIJSI_SB_EEENSM_IJSJ_SJ_EEENS0_18inequality_wrapperINS7_8equal_toISA_EEEEPmJSB_EEE10hipError_tPvRmT3_T4_T5_T6_T7_T9_mT8_P12ihipStream_tbDpT10_ENKUlT_T0_E_clISt17integral_constantIbLb1EES1C_IbLb0EEEEDaS18_S19_EUlS18_E_NS1_11comp_targetILNS1_3genE8ELNS1_11target_archE1030ELNS1_3gpuE2ELNS1_3repE0EEENS1_30default_config_static_selectorELNS0_4arch9wavefront6targetE1EEEvT1_
    .private_segment_fixed_size: 0
    .sgpr_count:     6
    .sgpr_spill_count: 0
    .symbol:         _ZN7rocprim17ROCPRIM_400000_NS6detail17trampoline_kernelINS0_14default_configENS1_25partition_config_selectorILNS1_17partition_subalgoE8EN6thrust23THRUST_200600_302600_NS5tupleIffNS7_9null_typeES9_S9_S9_S9_S9_S9_S9_EENS0_10empty_typeEbEEZZNS1_14partition_implILS5_8ELb0ES3_jNS7_6detail15normal_iteratorINS7_10device_ptrISA_EEEEPSB_PKSB_NS0_5tupleIJSI_SB_EEENSM_IJSJ_SJ_EEENS0_18inequality_wrapperINS7_8equal_toISA_EEEEPmJSB_EEE10hipError_tPvRmT3_T4_T5_T6_T7_T9_mT8_P12ihipStream_tbDpT10_ENKUlT_T0_E_clISt17integral_constantIbLb1EES1C_IbLb0EEEEDaS18_S19_EUlS18_E_NS1_11comp_targetILNS1_3genE8ELNS1_11target_archE1030ELNS1_3gpuE2ELNS1_3repE0EEENS1_30default_config_static_selectorELNS0_4arch9wavefront6targetE1EEEvT1_.kd
    .uniform_work_group_size: 1
    .uses_dynamic_stack: false
    .vgpr_count:     0
    .vgpr_spill_count: 0
    .wavefront_size: 64
  - .agpr_count:     0
    .args:
      - .address_space:  global
        .offset:         0
        .size:           8
        .value_kind:     global_buffer
      - .offset:         8
        .size:           4
        .value_kind:     by_value
      - .address_space:  global
        .offset:         16
        .size:           8
        .value_kind:     global_buffer
      - .offset:         24
        .size:           4
        .value_kind:     by_value
      - .address_space:  global
        .offset:         32
        .size:           8
        .value_kind:     global_buffer
      - .offset:         40
        .size:           4
        .value_kind:     hidden_block_count_x
      - .offset:         44
        .size:           4
        .value_kind:     hidden_block_count_y
      - .offset:         48
        .size:           4
        .value_kind:     hidden_block_count_z
      - .offset:         52
        .size:           2
        .value_kind:     hidden_group_size_x
      - .offset:         54
        .size:           2
        .value_kind:     hidden_group_size_y
      - .offset:         56
        .size:           2
        .value_kind:     hidden_group_size_z
      - .offset:         58
        .size:           2
        .value_kind:     hidden_remainder_x
      - .offset:         60
        .size:           2
        .value_kind:     hidden_remainder_y
      - .offset:         62
        .size:           2
        .value_kind:     hidden_remainder_z
      - .offset:         80
        .size:           8
        .value_kind:     hidden_global_offset_x
      - .offset:         88
        .size:           8
        .value_kind:     hidden_global_offset_y
      - .offset:         96
        .size:           8
        .value_kind:     hidden_global_offset_z
      - .offset:         104
        .size:           2
        .value_kind:     hidden_grid_dims
    .group_segment_fixed_size: 0
    .kernarg_segment_align: 8
    .kernarg_segment_size: 296
    .language:       OpenCL C
    .language_version:
      - 2
      - 0
    .max_flat_workgroup_size: 256
    .name:           _ZN7rocprim17ROCPRIM_400000_NS6detail31init_lookback_scan_state_kernelINS1_19lookback_scan_stateIjLb0ELb1EEENS1_16block_id_wrapperIjLb1EEEEEvT_jT0_jPNS7_10value_typeE
    .private_segment_fixed_size: 0
    .sgpr_count:     17
    .sgpr_spill_count: 0
    .symbol:         _ZN7rocprim17ROCPRIM_400000_NS6detail31init_lookback_scan_state_kernelINS1_19lookback_scan_stateIjLb0ELb1EEENS1_16block_id_wrapperIjLb1EEEEEvT_jT0_jPNS7_10value_typeE.kd
    .uniform_work_group_size: 1
    .uses_dynamic_stack: false
    .vgpr_count:     6
    .vgpr_spill_count: 0
    .wavefront_size: 64
  - .agpr_count:     0
    .args:
      - .offset:         0
        .size:           128
        .value_kind:     by_value
    .group_segment_fixed_size: 0
    .kernarg_segment_align: 8
    .kernarg_segment_size: 128
    .language:       OpenCL C
    .language_version:
      - 2
      - 0
    .max_flat_workgroup_size: 512
    .name:           _ZN7rocprim17ROCPRIM_400000_NS6detail17trampoline_kernelINS0_14default_configENS1_25partition_config_selectorILNS1_17partition_subalgoE8EN6thrust23THRUST_200600_302600_NS5tupleIffNS7_9null_typeES9_S9_S9_S9_S9_S9_S9_EENS0_10empty_typeEbEEZZNS1_14partition_implILS5_8ELb0ES3_jNS7_6detail15normal_iteratorINS7_10device_ptrISA_EEEEPSB_PKSB_NS0_5tupleIJSI_SB_EEENSM_IJSJ_SJ_EEENS0_18inequality_wrapperINS7_8equal_toISA_EEEEPmJSB_EEE10hipError_tPvRmT3_T4_T5_T6_T7_T9_mT8_P12ihipStream_tbDpT10_ENKUlT_T0_E_clISt17integral_constantIbLb0EES1C_IbLb1EEEEDaS18_S19_EUlS18_E_NS1_11comp_targetILNS1_3genE0ELNS1_11target_archE4294967295ELNS1_3gpuE0ELNS1_3repE0EEENS1_30default_config_static_selectorELNS0_4arch9wavefront6targetE1EEEvT1_
    .private_segment_fixed_size: 0
    .sgpr_count:     6
    .sgpr_spill_count: 0
    .symbol:         _ZN7rocprim17ROCPRIM_400000_NS6detail17trampoline_kernelINS0_14default_configENS1_25partition_config_selectorILNS1_17partition_subalgoE8EN6thrust23THRUST_200600_302600_NS5tupleIffNS7_9null_typeES9_S9_S9_S9_S9_S9_S9_EENS0_10empty_typeEbEEZZNS1_14partition_implILS5_8ELb0ES3_jNS7_6detail15normal_iteratorINS7_10device_ptrISA_EEEEPSB_PKSB_NS0_5tupleIJSI_SB_EEENSM_IJSJ_SJ_EEENS0_18inequality_wrapperINS7_8equal_toISA_EEEEPmJSB_EEE10hipError_tPvRmT3_T4_T5_T6_T7_T9_mT8_P12ihipStream_tbDpT10_ENKUlT_T0_E_clISt17integral_constantIbLb0EES1C_IbLb1EEEEDaS18_S19_EUlS18_E_NS1_11comp_targetILNS1_3genE0ELNS1_11target_archE4294967295ELNS1_3gpuE0ELNS1_3repE0EEENS1_30default_config_static_selectorELNS0_4arch9wavefront6targetE1EEEvT1_.kd
    .uniform_work_group_size: 1
    .uses_dynamic_stack: false
    .vgpr_count:     0
    .vgpr_spill_count: 0
    .wavefront_size: 64
  - .agpr_count:     0
    .args:
      - .offset:         0
        .size:           128
        .value_kind:     by_value
    .group_segment_fixed_size: 28680
    .kernarg_segment_align: 8
    .kernarg_segment_size: 128
    .language:       OpenCL C
    .language_version:
      - 2
      - 0
    .max_flat_workgroup_size: 512
    .name:           _ZN7rocprim17ROCPRIM_400000_NS6detail17trampoline_kernelINS0_14default_configENS1_25partition_config_selectorILNS1_17partition_subalgoE8EN6thrust23THRUST_200600_302600_NS5tupleIffNS7_9null_typeES9_S9_S9_S9_S9_S9_S9_EENS0_10empty_typeEbEEZZNS1_14partition_implILS5_8ELb0ES3_jNS7_6detail15normal_iteratorINS7_10device_ptrISA_EEEEPSB_PKSB_NS0_5tupleIJSI_SB_EEENSM_IJSJ_SJ_EEENS0_18inequality_wrapperINS7_8equal_toISA_EEEEPmJSB_EEE10hipError_tPvRmT3_T4_T5_T6_T7_T9_mT8_P12ihipStream_tbDpT10_ENKUlT_T0_E_clISt17integral_constantIbLb0EES1C_IbLb1EEEEDaS18_S19_EUlS18_E_NS1_11comp_targetILNS1_3genE5ELNS1_11target_archE942ELNS1_3gpuE9ELNS1_3repE0EEENS1_30default_config_static_selectorELNS0_4arch9wavefront6targetE1EEEvT1_
    .private_segment_fixed_size: 0
    .sgpr_count:     53
    .sgpr_spill_count: 0
    .symbol:         _ZN7rocprim17ROCPRIM_400000_NS6detail17trampoline_kernelINS0_14default_configENS1_25partition_config_selectorILNS1_17partition_subalgoE8EN6thrust23THRUST_200600_302600_NS5tupleIffNS7_9null_typeES9_S9_S9_S9_S9_S9_S9_EENS0_10empty_typeEbEEZZNS1_14partition_implILS5_8ELb0ES3_jNS7_6detail15normal_iteratorINS7_10device_ptrISA_EEEEPSB_PKSB_NS0_5tupleIJSI_SB_EEENSM_IJSJ_SJ_EEENS0_18inequality_wrapperINS7_8equal_toISA_EEEEPmJSB_EEE10hipError_tPvRmT3_T4_T5_T6_T7_T9_mT8_P12ihipStream_tbDpT10_ENKUlT_T0_E_clISt17integral_constantIbLb0EES1C_IbLb1EEEEDaS18_S19_EUlS18_E_NS1_11comp_targetILNS1_3genE5ELNS1_11target_archE942ELNS1_3gpuE9ELNS1_3repE0EEENS1_30default_config_static_selectorELNS0_4arch9wavefront6targetE1EEEvT1_.kd
    .uniform_work_group_size: 1
    .uses_dynamic_stack: false
    .vgpr_count:     74
    .vgpr_spill_count: 0
    .wavefront_size: 64
  - .agpr_count:     0
    .args:
      - .offset:         0
        .size:           128
        .value_kind:     by_value
    .group_segment_fixed_size: 0
    .kernarg_segment_align: 8
    .kernarg_segment_size: 128
    .language:       OpenCL C
    .language_version:
      - 2
      - 0
    .max_flat_workgroup_size: 256
    .name:           _ZN7rocprim17ROCPRIM_400000_NS6detail17trampoline_kernelINS0_14default_configENS1_25partition_config_selectorILNS1_17partition_subalgoE8EN6thrust23THRUST_200600_302600_NS5tupleIffNS7_9null_typeES9_S9_S9_S9_S9_S9_S9_EENS0_10empty_typeEbEEZZNS1_14partition_implILS5_8ELb0ES3_jNS7_6detail15normal_iteratorINS7_10device_ptrISA_EEEEPSB_PKSB_NS0_5tupleIJSI_SB_EEENSM_IJSJ_SJ_EEENS0_18inequality_wrapperINS7_8equal_toISA_EEEEPmJSB_EEE10hipError_tPvRmT3_T4_T5_T6_T7_T9_mT8_P12ihipStream_tbDpT10_ENKUlT_T0_E_clISt17integral_constantIbLb0EES1C_IbLb1EEEEDaS18_S19_EUlS18_E_NS1_11comp_targetILNS1_3genE4ELNS1_11target_archE910ELNS1_3gpuE8ELNS1_3repE0EEENS1_30default_config_static_selectorELNS0_4arch9wavefront6targetE1EEEvT1_
    .private_segment_fixed_size: 0
    .sgpr_count:     6
    .sgpr_spill_count: 0
    .symbol:         _ZN7rocprim17ROCPRIM_400000_NS6detail17trampoline_kernelINS0_14default_configENS1_25partition_config_selectorILNS1_17partition_subalgoE8EN6thrust23THRUST_200600_302600_NS5tupleIffNS7_9null_typeES9_S9_S9_S9_S9_S9_S9_EENS0_10empty_typeEbEEZZNS1_14partition_implILS5_8ELb0ES3_jNS7_6detail15normal_iteratorINS7_10device_ptrISA_EEEEPSB_PKSB_NS0_5tupleIJSI_SB_EEENSM_IJSJ_SJ_EEENS0_18inequality_wrapperINS7_8equal_toISA_EEEEPmJSB_EEE10hipError_tPvRmT3_T4_T5_T6_T7_T9_mT8_P12ihipStream_tbDpT10_ENKUlT_T0_E_clISt17integral_constantIbLb0EES1C_IbLb1EEEEDaS18_S19_EUlS18_E_NS1_11comp_targetILNS1_3genE4ELNS1_11target_archE910ELNS1_3gpuE8ELNS1_3repE0EEENS1_30default_config_static_selectorELNS0_4arch9wavefront6targetE1EEEvT1_.kd
    .uniform_work_group_size: 1
    .uses_dynamic_stack: false
    .vgpr_count:     0
    .vgpr_spill_count: 0
    .wavefront_size: 64
  - .agpr_count:     0
    .args:
      - .offset:         0
        .size:           128
        .value_kind:     by_value
    .group_segment_fixed_size: 0
    .kernarg_segment_align: 8
    .kernarg_segment_size: 128
    .language:       OpenCL C
    .language_version:
      - 2
      - 0
    .max_flat_workgroup_size: 512
    .name:           _ZN7rocprim17ROCPRIM_400000_NS6detail17trampoline_kernelINS0_14default_configENS1_25partition_config_selectorILNS1_17partition_subalgoE8EN6thrust23THRUST_200600_302600_NS5tupleIffNS7_9null_typeES9_S9_S9_S9_S9_S9_S9_EENS0_10empty_typeEbEEZZNS1_14partition_implILS5_8ELb0ES3_jNS7_6detail15normal_iteratorINS7_10device_ptrISA_EEEEPSB_PKSB_NS0_5tupleIJSI_SB_EEENSM_IJSJ_SJ_EEENS0_18inequality_wrapperINS7_8equal_toISA_EEEEPmJSB_EEE10hipError_tPvRmT3_T4_T5_T6_T7_T9_mT8_P12ihipStream_tbDpT10_ENKUlT_T0_E_clISt17integral_constantIbLb0EES1C_IbLb1EEEEDaS18_S19_EUlS18_E_NS1_11comp_targetILNS1_3genE3ELNS1_11target_archE908ELNS1_3gpuE7ELNS1_3repE0EEENS1_30default_config_static_selectorELNS0_4arch9wavefront6targetE1EEEvT1_
    .private_segment_fixed_size: 0
    .sgpr_count:     6
    .sgpr_spill_count: 0
    .symbol:         _ZN7rocprim17ROCPRIM_400000_NS6detail17trampoline_kernelINS0_14default_configENS1_25partition_config_selectorILNS1_17partition_subalgoE8EN6thrust23THRUST_200600_302600_NS5tupleIffNS7_9null_typeES9_S9_S9_S9_S9_S9_S9_EENS0_10empty_typeEbEEZZNS1_14partition_implILS5_8ELb0ES3_jNS7_6detail15normal_iteratorINS7_10device_ptrISA_EEEEPSB_PKSB_NS0_5tupleIJSI_SB_EEENSM_IJSJ_SJ_EEENS0_18inequality_wrapperINS7_8equal_toISA_EEEEPmJSB_EEE10hipError_tPvRmT3_T4_T5_T6_T7_T9_mT8_P12ihipStream_tbDpT10_ENKUlT_T0_E_clISt17integral_constantIbLb0EES1C_IbLb1EEEEDaS18_S19_EUlS18_E_NS1_11comp_targetILNS1_3genE3ELNS1_11target_archE908ELNS1_3gpuE7ELNS1_3repE0EEENS1_30default_config_static_selectorELNS0_4arch9wavefront6targetE1EEEvT1_.kd
    .uniform_work_group_size: 1
    .uses_dynamic_stack: false
    .vgpr_count:     0
    .vgpr_spill_count: 0
    .wavefront_size: 64
  - .agpr_count:     0
    .args:
      - .offset:         0
        .size:           128
        .value_kind:     by_value
    .group_segment_fixed_size: 0
    .kernarg_segment_align: 8
    .kernarg_segment_size: 128
    .language:       OpenCL C
    .language_version:
      - 2
      - 0
    .max_flat_workgroup_size: 256
    .name:           _ZN7rocprim17ROCPRIM_400000_NS6detail17trampoline_kernelINS0_14default_configENS1_25partition_config_selectorILNS1_17partition_subalgoE8EN6thrust23THRUST_200600_302600_NS5tupleIffNS7_9null_typeES9_S9_S9_S9_S9_S9_S9_EENS0_10empty_typeEbEEZZNS1_14partition_implILS5_8ELb0ES3_jNS7_6detail15normal_iteratorINS7_10device_ptrISA_EEEEPSB_PKSB_NS0_5tupleIJSI_SB_EEENSM_IJSJ_SJ_EEENS0_18inequality_wrapperINS7_8equal_toISA_EEEEPmJSB_EEE10hipError_tPvRmT3_T4_T5_T6_T7_T9_mT8_P12ihipStream_tbDpT10_ENKUlT_T0_E_clISt17integral_constantIbLb0EES1C_IbLb1EEEEDaS18_S19_EUlS18_E_NS1_11comp_targetILNS1_3genE2ELNS1_11target_archE906ELNS1_3gpuE6ELNS1_3repE0EEENS1_30default_config_static_selectorELNS0_4arch9wavefront6targetE1EEEvT1_
    .private_segment_fixed_size: 0
    .sgpr_count:     6
    .sgpr_spill_count: 0
    .symbol:         _ZN7rocprim17ROCPRIM_400000_NS6detail17trampoline_kernelINS0_14default_configENS1_25partition_config_selectorILNS1_17partition_subalgoE8EN6thrust23THRUST_200600_302600_NS5tupleIffNS7_9null_typeES9_S9_S9_S9_S9_S9_S9_EENS0_10empty_typeEbEEZZNS1_14partition_implILS5_8ELb0ES3_jNS7_6detail15normal_iteratorINS7_10device_ptrISA_EEEEPSB_PKSB_NS0_5tupleIJSI_SB_EEENSM_IJSJ_SJ_EEENS0_18inequality_wrapperINS7_8equal_toISA_EEEEPmJSB_EEE10hipError_tPvRmT3_T4_T5_T6_T7_T9_mT8_P12ihipStream_tbDpT10_ENKUlT_T0_E_clISt17integral_constantIbLb0EES1C_IbLb1EEEEDaS18_S19_EUlS18_E_NS1_11comp_targetILNS1_3genE2ELNS1_11target_archE906ELNS1_3gpuE6ELNS1_3repE0EEENS1_30default_config_static_selectorELNS0_4arch9wavefront6targetE1EEEvT1_.kd
    .uniform_work_group_size: 1
    .uses_dynamic_stack: false
    .vgpr_count:     0
    .vgpr_spill_count: 0
    .wavefront_size: 64
  - .agpr_count:     0
    .args:
      - .offset:         0
        .size:           128
        .value_kind:     by_value
    .group_segment_fixed_size: 0
    .kernarg_segment_align: 8
    .kernarg_segment_size: 128
    .language:       OpenCL C
    .language_version:
      - 2
      - 0
    .max_flat_workgroup_size: 384
    .name:           _ZN7rocprim17ROCPRIM_400000_NS6detail17trampoline_kernelINS0_14default_configENS1_25partition_config_selectorILNS1_17partition_subalgoE8EN6thrust23THRUST_200600_302600_NS5tupleIffNS7_9null_typeES9_S9_S9_S9_S9_S9_S9_EENS0_10empty_typeEbEEZZNS1_14partition_implILS5_8ELb0ES3_jNS7_6detail15normal_iteratorINS7_10device_ptrISA_EEEEPSB_PKSB_NS0_5tupleIJSI_SB_EEENSM_IJSJ_SJ_EEENS0_18inequality_wrapperINS7_8equal_toISA_EEEEPmJSB_EEE10hipError_tPvRmT3_T4_T5_T6_T7_T9_mT8_P12ihipStream_tbDpT10_ENKUlT_T0_E_clISt17integral_constantIbLb0EES1C_IbLb1EEEEDaS18_S19_EUlS18_E_NS1_11comp_targetILNS1_3genE10ELNS1_11target_archE1200ELNS1_3gpuE4ELNS1_3repE0EEENS1_30default_config_static_selectorELNS0_4arch9wavefront6targetE1EEEvT1_
    .private_segment_fixed_size: 0
    .sgpr_count:     6
    .sgpr_spill_count: 0
    .symbol:         _ZN7rocprim17ROCPRIM_400000_NS6detail17trampoline_kernelINS0_14default_configENS1_25partition_config_selectorILNS1_17partition_subalgoE8EN6thrust23THRUST_200600_302600_NS5tupleIffNS7_9null_typeES9_S9_S9_S9_S9_S9_S9_EENS0_10empty_typeEbEEZZNS1_14partition_implILS5_8ELb0ES3_jNS7_6detail15normal_iteratorINS7_10device_ptrISA_EEEEPSB_PKSB_NS0_5tupleIJSI_SB_EEENSM_IJSJ_SJ_EEENS0_18inequality_wrapperINS7_8equal_toISA_EEEEPmJSB_EEE10hipError_tPvRmT3_T4_T5_T6_T7_T9_mT8_P12ihipStream_tbDpT10_ENKUlT_T0_E_clISt17integral_constantIbLb0EES1C_IbLb1EEEEDaS18_S19_EUlS18_E_NS1_11comp_targetILNS1_3genE10ELNS1_11target_archE1200ELNS1_3gpuE4ELNS1_3repE0EEENS1_30default_config_static_selectorELNS0_4arch9wavefront6targetE1EEEvT1_.kd
    .uniform_work_group_size: 1
    .uses_dynamic_stack: false
    .vgpr_count:     0
    .vgpr_spill_count: 0
    .wavefront_size: 64
  - .agpr_count:     0
    .args:
      - .offset:         0
        .size:           128
        .value_kind:     by_value
    .group_segment_fixed_size: 0
    .kernarg_segment_align: 8
    .kernarg_segment_size: 128
    .language:       OpenCL C
    .language_version:
      - 2
      - 0
    .max_flat_workgroup_size: 512
    .name:           _ZN7rocprim17ROCPRIM_400000_NS6detail17trampoline_kernelINS0_14default_configENS1_25partition_config_selectorILNS1_17partition_subalgoE8EN6thrust23THRUST_200600_302600_NS5tupleIffNS7_9null_typeES9_S9_S9_S9_S9_S9_S9_EENS0_10empty_typeEbEEZZNS1_14partition_implILS5_8ELb0ES3_jNS7_6detail15normal_iteratorINS7_10device_ptrISA_EEEEPSB_PKSB_NS0_5tupleIJSI_SB_EEENSM_IJSJ_SJ_EEENS0_18inequality_wrapperINS7_8equal_toISA_EEEEPmJSB_EEE10hipError_tPvRmT3_T4_T5_T6_T7_T9_mT8_P12ihipStream_tbDpT10_ENKUlT_T0_E_clISt17integral_constantIbLb0EES1C_IbLb1EEEEDaS18_S19_EUlS18_E_NS1_11comp_targetILNS1_3genE9ELNS1_11target_archE1100ELNS1_3gpuE3ELNS1_3repE0EEENS1_30default_config_static_selectorELNS0_4arch9wavefront6targetE1EEEvT1_
    .private_segment_fixed_size: 0
    .sgpr_count:     6
    .sgpr_spill_count: 0
    .symbol:         _ZN7rocprim17ROCPRIM_400000_NS6detail17trampoline_kernelINS0_14default_configENS1_25partition_config_selectorILNS1_17partition_subalgoE8EN6thrust23THRUST_200600_302600_NS5tupleIffNS7_9null_typeES9_S9_S9_S9_S9_S9_S9_EENS0_10empty_typeEbEEZZNS1_14partition_implILS5_8ELb0ES3_jNS7_6detail15normal_iteratorINS7_10device_ptrISA_EEEEPSB_PKSB_NS0_5tupleIJSI_SB_EEENSM_IJSJ_SJ_EEENS0_18inequality_wrapperINS7_8equal_toISA_EEEEPmJSB_EEE10hipError_tPvRmT3_T4_T5_T6_T7_T9_mT8_P12ihipStream_tbDpT10_ENKUlT_T0_E_clISt17integral_constantIbLb0EES1C_IbLb1EEEEDaS18_S19_EUlS18_E_NS1_11comp_targetILNS1_3genE9ELNS1_11target_archE1100ELNS1_3gpuE3ELNS1_3repE0EEENS1_30default_config_static_selectorELNS0_4arch9wavefront6targetE1EEEvT1_.kd
    .uniform_work_group_size: 1
    .uses_dynamic_stack: false
    .vgpr_count:     0
    .vgpr_spill_count: 0
    .wavefront_size: 64
  - .agpr_count:     0
    .args:
      - .offset:         0
        .size:           128
        .value_kind:     by_value
    .group_segment_fixed_size: 0
    .kernarg_segment_align: 8
    .kernarg_segment_size: 128
    .language:       OpenCL C
    .language_version:
      - 2
      - 0
    .max_flat_workgroup_size: 512
    .name:           _ZN7rocprim17ROCPRIM_400000_NS6detail17trampoline_kernelINS0_14default_configENS1_25partition_config_selectorILNS1_17partition_subalgoE8EN6thrust23THRUST_200600_302600_NS5tupleIffNS7_9null_typeES9_S9_S9_S9_S9_S9_S9_EENS0_10empty_typeEbEEZZNS1_14partition_implILS5_8ELb0ES3_jNS7_6detail15normal_iteratorINS7_10device_ptrISA_EEEEPSB_PKSB_NS0_5tupleIJSI_SB_EEENSM_IJSJ_SJ_EEENS0_18inequality_wrapperINS7_8equal_toISA_EEEEPmJSB_EEE10hipError_tPvRmT3_T4_T5_T6_T7_T9_mT8_P12ihipStream_tbDpT10_ENKUlT_T0_E_clISt17integral_constantIbLb0EES1C_IbLb1EEEEDaS18_S19_EUlS18_E_NS1_11comp_targetILNS1_3genE8ELNS1_11target_archE1030ELNS1_3gpuE2ELNS1_3repE0EEENS1_30default_config_static_selectorELNS0_4arch9wavefront6targetE1EEEvT1_
    .private_segment_fixed_size: 0
    .sgpr_count:     6
    .sgpr_spill_count: 0
    .symbol:         _ZN7rocprim17ROCPRIM_400000_NS6detail17trampoline_kernelINS0_14default_configENS1_25partition_config_selectorILNS1_17partition_subalgoE8EN6thrust23THRUST_200600_302600_NS5tupleIffNS7_9null_typeES9_S9_S9_S9_S9_S9_S9_EENS0_10empty_typeEbEEZZNS1_14partition_implILS5_8ELb0ES3_jNS7_6detail15normal_iteratorINS7_10device_ptrISA_EEEEPSB_PKSB_NS0_5tupleIJSI_SB_EEENSM_IJSJ_SJ_EEENS0_18inequality_wrapperINS7_8equal_toISA_EEEEPmJSB_EEE10hipError_tPvRmT3_T4_T5_T6_T7_T9_mT8_P12ihipStream_tbDpT10_ENKUlT_T0_E_clISt17integral_constantIbLb0EES1C_IbLb1EEEEDaS18_S19_EUlS18_E_NS1_11comp_targetILNS1_3genE8ELNS1_11target_archE1030ELNS1_3gpuE2ELNS1_3repE0EEENS1_30default_config_static_selectorELNS0_4arch9wavefront6targetE1EEEvT1_.kd
    .uniform_work_group_size: 1
    .uses_dynamic_stack: false
    .vgpr_count:     0
    .vgpr_spill_count: 0
    .wavefront_size: 64
  - .agpr_count:     0
    .args:
      - .offset:         0
        .size:           24
        .value_kind:     by_value
      - .offset:         24
        .size:           8
        .value_kind:     by_value
      - .offset:         32
        .size:           8
        .value_kind:     by_value
    .group_segment_fixed_size: 0
    .kernarg_segment_align: 8
    .kernarg_segment_size: 40
    .language:       OpenCL C
    .language_version:
      - 2
      - 0
    .max_flat_workgroup_size: 256
    .name:           _ZN6thrust23THRUST_200600_302600_NS11hip_rocprim14__parallel_for6kernelILj256ENS1_10for_each_fINS0_12zip_iteratorINS0_5tupleINS0_6detail15normal_iteratorINS0_10device_ptrINS6_IffNS0_9null_typeESA_SA_SA_SA_SA_SA_SA_EEEEEENS0_7pointerISB_NS1_3tagENS0_11use_defaultESG_EESA_SA_SA_SA_SA_SA_SA_SA_EEEENS7_16wrapped_functionINS7_23allocator_traits_detail29copy_construct_with_allocatorINS7_18no_throw_allocatorINS7_19temporary_allocatorISB_SF_EEEESB_SB_EEvEEEElLj1EEEvT0_T1_SV_
    .private_segment_fixed_size: 0
    .sgpr_count:     14
    .sgpr_spill_count: 0
    .symbol:         _ZN6thrust23THRUST_200600_302600_NS11hip_rocprim14__parallel_for6kernelILj256ENS1_10for_each_fINS0_12zip_iteratorINS0_5tupleINS0_6detail15normal_iteratorINS0_10device_ptrINS6_IffNS0_9null_typeESA_SA_SA_SA_SA_SA_SA_EEEEEENS0_7pointerISB_NS1_3tagENS0_11use_defaultESG_EESA_SA_SA_SA_SA_SA_SA_SA_EEEENS7_16wrapped_functionINS7_23allocator_traits_detail29copy_construct_with_allocatorINS7_18no_throw_allocatorINS7_19temporary_allocatorISB_SF_EEEESB_SB_EEvEEEElLj1EEEvT0_T1_SV_.kd
    .uniform_work_group_size: 1
    .uses_dynamic_stack: false
    .vgpr_count:     4
    .vgpr_spill_count: 0
    .wavefront_size: 64
  - .agpr_count:     0
    .args:
      - .offset:         0
        .size:           24
        .value_kind:     by_value
      - .offset:         24
        .size:           8
        .value_kind:     by_value
      - .offset:         32
        .size:           8
        .value_kind:     by_value
    .group_segment_fixed_size: 0
    .kernarg_segment_align: 8
    .kernarg_segment_size: 40
    .language:       OpenCL C
    .language_version:
      - 2
      - 0
    .max_flat_workgroup_size: 256
    .name:           _ZN6thrust23THRUST_200600_302600_NS11hip_rocprim14__parallel_for6kernelILj256ENS1_11__transform17unary_transform_fINS0_6detail15normal_iteratorINS0_7pointerINS0_5tupleIffNS0_9null_typeESA_SA_SA_SA_SA_SA_SA_EENS1_3tagENS0_11use_defaultESD_EEEENS7_INS0_10device_ptrISB_EEEENS4_14no_stencil_tagENS0_8identityISB_EENS4_21always_true_predicateEEElLj1EEEvT0_T1_SP_
    .private_segment_fixed_size: 0
    .sgpr_count:     18
    .sgpr_spill_count: 0
    .symbol:         _ZN6thrust23THRUST_200600_302600_NS11hip_rocprim14__parallel_for6kernelILj256ENS1_11__transform17unary_transform_fINS0_6detail15normal_iteratorINS0_7pointerINS0_5tupleIffNS0_9null_typeESA_SA_SA_SA_SA_SA_SA_EENS1_3tagENS0_11use_defaultESD_EEEENS7_INS0_10device_ptrISB_EEEENS4_14no_stencil_tagENS0_8identityISB_EENS4_21always_true_predicateEEElLj1EEEvT0_T1_SP_.kd
    .uniform_work_group_size: 1
    .uses_dynamic_stack: false
    .vgpr_count:     6
    .vgpr_spill_count: 0
    .wavefront_size: 64
  - .agpr_count:     0
    .args:
      - .offset:         0
        .size:           56
        .value_kind:     by_value
    .group_segment_fixed_size: 0
    .kernarg_segment_align: 8
    .kernarg_segment_size: 56
    .language:       OpenCL C
    .language_version:
      - 2
      - 0
    .max_flat_workgroup_size: 256
    .name:           _ZN7rocprim17ROCPRIM_400000_NS6detail17trampoline_kernelINS0_14default_configENS1_27lower_bound_config_selectorIN6thrust23THRUST_200600_302600_NS5tupleIffNS6_9null_typeES8_S8_S8_S8_S8_S8_S8_EEjEEZNS1_14transform_implILb0ES3_SA_NS6_6detail15normal_iteratorINS6_10device_ptrIS9_EEEENSD_INSE_IjEEEEZNS1_13binary_searchIS3_SA_SG_SG_SI_NS1_21lower_bound_search_opENSC_16wrapped_functionINS0_4lessIvEEbEEEE10hipError_tPvRmT1_T2_T3_mmT4_T5_P12ihipStream_tbEUlRKS9_E_EESP_ST_SU_mSV_SY_bEUlT_E_NS1_11comp_targetILNS1_3genE0ELNS1_11target_archE4294967295ELNS1_3gpuE0ELNS1_3repE0EEENS1_30default_config_static_selectorELNS0_4arch9wavefront6targetE1EEEvSS_
    .private_segment_fixed_size: 0
    .sgpr_count:     6
    .sgpr_spill_count: 0
    .symbol:         _ZN7rocprim17ROCPRIM_400000_NS6detail17trampoline_kernelINS0_14default_configENS1_27lower_bound_config_selectorIN6thrust23THRUST_200600_302600_NS5tupleIffNS6_9null_typeES8_S8_S8_S8_S8_S8_S8_EEjEEZNS1_14transform_implILb0ES3_SA_NS6_6detail15normal_iteratorINS6_10device_ptrIS9_EEEENSD_INSE_IjEEEEZNS1_13binary_searchIS3_SA_SG_SG_SI_NS1_21lower_bound_search_opENSC_16wrapped_functionINS0_4lessIvEEbEEEE10hipError_tPvRmT1_T2_T3_mmT4_T5_P12ihipStream_tbEUlRKS9_E_EESP_ST_SU_mSV_SY_bEUlT_E_NS1_11comp_targetILNS1_3genE0ELNS1_11target_archE4294967295ELNS1_3gpuE0ELNS1_3repE0EEENS1_30default_config_static_selectorELNS0_4arch9wavefront6targetE1EEEvSS_.kd
    .uniform_work_group_size: 1
    .uses_dynamic_stack: false
    .vgpr_count:     0
    .vgpr_spill_count: 0
    .wavefront_size: 64
  - .agpr_count:     0
    .args:
      - .offset:         0
        .size:           56
        .value_kind:     by_value
      - .offset:         56
        .size:           4
        .value_kind:     hidden_block_count_x
      - .offset:         60
        .size:           4
        .value_kind:     hidden_block_count_y
      - .offset:         64
        .size:           4
        .value_kind:     hidden_block_count_z
      - .offset:         68
        .size:           2
        .value_kind:     hidden_group_size_x
      - .offset:         70
        .size:           2
        .value_kind:     hidden_group_size_y
      - .offset:         72
        .size:           2
        .value_kind:     hidden_group_size_z
      - .offset:         74
        .size:           2
        .value_kind:     hidden_remainder_x
      - .offset:         76
        .size:           2
        .value_kind:     hidden_remainder_y
      - .offset:         78
        .size:           2
        .value_kind:     hidden_remainder_z
      - .offset:         96
        .size:           8
        .value_kind:     hidden_global_offset_x
      - .offset:         104
        .size:           8
        .value_kind:     hidden_global_offset_y
      - .offset:         112
        .size:           8
        .value_kind:     hidden_global_offset_z
      - .offset:         120
        .size:           2
        .value_kind:     hidden_grid_dims
    .group_segment_fixed_size: 0
    .kernarg_segment_align: 8
    .kernarg_segment_size: 312
    .language:       OpenCL C
    .language_version:
      - 2
      - 0
    .max_flat_workgroup_size: 64
    .name:           _ZN7rocprim17ROCPRIM_400000_NS6detail17trampoline_kernelINS0_14default_configENS1_27lower_bound_config_selectorIN6thrust23THRUST_200600_302600_NS5tupleIffNS6_9null_typeES8_S8_S8_S8_S8_S8_S8_EEjEEZNS1_14transform_implILb0ES3_SA_NS6_6detail15normal_iteratorINS6_10device_ptrIS9_EEEENSD_INSE_IjEEEEZNS1_13binary_searchIS3_SA_SG_SG_SI_NS1_21lower_bound_search_opENSC_16wrapped_functionINS0_4lessIvEEbEEEE10hipError_tPvRmT1_T2_T3_mmT4_T5_P12ihipStream_tbEUlRKS9_E_EESP_ST_SU_mSV_SY_bEUlT_E_NS1_11comp_targetILNS1_3genE5ELNS1_11target_archE942ELNS1_3gpuE9ELNS1_3repE0EEENS1_30default_config_static_selectorELNS0_4arch9wavefront6targetE1EEEvSS_
    .private_segment_fixed_size: 0
    .sgpr_count:     28
    .sgpr_spill_count: 0
    .symbol:         _ZN7rocprim17ROCPRIM_400000_NS6detail17trampoline_kernelINS0_14default_configENS1_27lower_bound_config_selectorIN6thrust23THRUST_200600_302600_NS5tupleIffNS6_9null_typeES8_S8_S8_S8_S8_S8_S8_EEjEEZNS1_14transform_implILb0ES3_SA_NS6_6detail15normal_iteratorINS6_10device_ptrIS9_EEEENSD_INSE_IjEEEEZNS1_13binary_searchIS3_SA_SG_SG_SI_NS1_21lower_bound_search_opENSC_16wrapped_functionINS0_4lessIvEEbEEEE10hipError_tPvRmT1_T2_T3_mmT4_T5_P12ihipStream_tbEUlRKS9_E_EESP_ST_SU_mSV_SY_bEUlT_E_NS1_11comp_targetILNS1_3genE5ELNS1_11target_archE942ELNS1_3gpuE9ELNS1_3repE0EEENS1_30default_config_static_selectorELNS0_4arch9wavefront6targetE1EEEvSS_.kd
    .uniform_work_group_size: 1
    .uses_dynamic_stack: false
    .vgpr_count:     12
    .vgpr_spill_count: 0
    .wavefront_size: 64
  - .agpr_count:     0
    .args:
      - .offset:         0
        .size:           56
        .value_kind:     by_value
    .group_segment_fixed_size: 0
    .kernarg_segment_align: 8
    .kernarg_segment_size: 56
    .language:       OpenCL C
    .language_version:
      - 2
      - 0
    .max_flat_workgroup_size: 64
    .name:           _ZN7rocprim17ROCPRIM_400000_NS6detail17trampoline_kernelINS0_14default_configENS1_27lower_bound_config_selectorIN6thrust23THRUST_200600_302600_NS5tupleIffNS6_9null_typeES8_S8_S8_S8_S8_S8_S8_EEjEEZNS1_14transform_implILb0ES3_SA_NS6_6detail15normal_iteratorINS6_10device_ptrIS9_EEEENSD_INSE_IjEEEEZNS1_13binary_searchIS3_SA_SG_SG_SI_NS1_21lower_bound_search_opENSC_16wrapped_functionINS0_4lessIvEEbEEEE10hipError_tPvRmT1_T2_T3_mmT4_T5_P12ihipStream_tbEUlRKS9_E_EESP_ST_SU_mSV_SY_bEUlT_E_NS1_11comp_targetILNS1_3genE4ELNS1_11target_archE910ELNS1_3gpuE8ELNS1_3repE0EEENS1_30default_config_static_selectorELNS0_4arch9wavefront6targetE1EEEvSS_
    .private_segment_fixed_size: 0
    .sgpr_count:     6
    .sgpr_spill_count: 0
    .symbol:         _ZN7rocprim17ROCPRIM_400000_NS6detail17trampoline_kernelINS0_14default_configENS1_27lower_bound_config_selectorIN6thrust23THRUST_200600_302600_NS5tupleIffNS6_9null_typeES8_S8_S8_S8_S8_S8_S8_EEjEEZNS1_14transform_implILb0ES3_SA_NS6_6detail15normal_iteratorINS6_10device_ptrIS9_EEEENSD_INSE_IjEEEEZNS1_13binary_searchIS3_SA_SG_SG_SI_NS1_21lower_bound_search_opENSC_16wrapped_functionINS0_4lessIvEEbEEEE10hipError_tPvRmT1_T2_T3_mmT4_T5_P12ihipStream_tbEUlRKS9_E_EESP_ST_SU_mSV_SY_bEUlT_E_NS1_11comp_targetILNS1_3genE4ELNS1_11target_archE910ELNS1_3gpuE8ELNS1_3repE0EEENS1_30default_config_static_selectorELNS0_4arch9wavefront6targetE1EEEvSS_.kd
    .uniform_work_group_size: 1
    .uses_dynamic_stack: false
    .vgpr_count:     0
    .vgpr_spill_count: 0
    .wavefront_size: 64
  - .agpr_count:     0
    .args:
      - .offset:         0
        .size:           56
        .value_kind:     by_value
    .group_segment_fixed_size: 0
    .kernarg_segment_align: 8
    .kernarg_segment_size: 56
    .language:       OpenCL C
    .language_version:
      - 2
      - 0
    .max_flat_workgroup_size: 256
    .name:           _ZN7rocprim17ROCPRIM_400000_NS6detail17trampoline_kernelINS0_14default_configENS1_27lower_bound_config_selectorIN6thrust23THRUST_200600_302600_NS5tupleIffNS6_9null_typeES8_S8_S8_S8_S8_S8_S8_EEjEEZNS1_14transform_implILb0ES3_SA_NS6_6detail15normal_iteratorINS6_10device_ptrIS9_EEEENSD_INSE_IjEEEEZNS1_13binary_searchIS3_SA_SG_SG_SI_NS1_21lower_bound_search_opENSC_16wrapped_functionINS0_4lessIvEEbEEEE10hipError_tPvRmT1_T2_T3_mmT4_T5_P12ihipStream_tbEUlRKS9_E_EESP_ST_SU_mSV_SY_bEUlT_E_NS1_11comp_targetILNS1_3genE3ELNS1_11target_archE908ELNS1_3gpuE7ELNS1_3repE0EEENS1_30default_config_static_selectorELNS0_4arch9wavefront6targetE1EEEvSS_
    .private_segment_fixed_size: 0
    .sgpr_count:     6
    .sgpr_spill_count: 0
    .symbol:         _ZN7rocprim17ROCPRIM_400000_NS6detail17trampoline_kernelINS0_14default_configENS1_27lower_bound_config_selectorIN6thrust23THRUST_200600_302600_NS5tupleIffNS6_9null_typeES8_S8_S8_S8_S8_S8_S8_EEjEEZNS1_14transform_implILb0ES3_SA_NS6_6detail15normal_iteratorINS6_10device_ptrIS9_EEEENSD_INSE_IjEEEEZNS1_13binary_searchIS3_SA_SG_SG_SI_NS1_21lower_bound_search_opENSC_16wrapped_functionINS0_4lessIvEEbEEEE10hipError_tPvRmT1_T2_T3_mmT4_T5_P12ihipStream_tbEUlRKS9_E_EESP_ST_SU_mSV_SY_bEUlT_E_NS1_11comp_targetILNS1_3genE3ELNS1_11target_archE908ELNS1_3gpuE7ELNS1_3repE0EEENS1_30default_config_static_selectorELNS0_4arch9wavefront6targetE1EEEvSS_.kd
    .uniform_work_group_size: 1
    .uses_dynamic_stack: false
    .vgpr_count:     0
    .vgpr_spill_count: 0
    .wavefront_size: 64
  - .agpr_count:     0
    .args:
      - .offset:         0
        .size:           56
        .value_kind:     by_value
    .group_segment_fixed_size: 0
    .kernarg_segment_align: 8
    .kernarg_segment_size: 56
    .language:       OpenCL C
    .language_version:
      - 2
      - 0
    .max_flat_workgroup_size: 256
    .name:           _ZN7rocprim17ROCPRIM_400000_NS6detail17trampoline_kernelINS0_14default_configENS1_27lower_bound_config_selectorIN6thrust23THRUST_200600_302600_NS5tupleIffNS6_9null_typeES8_S8_S8_S8_S8_S8_S8_EEjEEZNS1_14transform_implILb0ES3_SA_NS6_6detail15normal_iteratorINS6_10device_ptrIS9_EEEENSD_INSE_IjEEEEZNS1_13binary_searchIS3_SA_SG_SG_SI_NS1_21lower_bound_search_opENSC_16wrapped_functionINS0_4lessIvEEbEEEE10hipError_tPvRmT1_T2_T3_mmT4_T5_P12ihipStream_tbEUlRKS9_E_EESP_ST_SU_mSV_SY_bEUlT_E_NS1_11comp_targetILNS1_3genE2ELNS1_11target_archE906ELNS1_3gpuE6ELNS1_3repE0EEENS1_30default_config_static_selectorELNS0_4arch9wavefront6targetE1EEEvSS_
    .private_segment_fixed_size: 0
    .sgpr_count:     6
    .sgpr_spill_count: 0
    .symbol:         _ZN7rocprim17ROCPRIM_400000_NS6detail17trampoline_kernelINS0_14default_configENS1_27lower_bound_config_selectorIN6thrust23THRUST_200600_302600_NS5tupleIffNS6_9null_typeES8_S8_S8_S8_S8_S8_S8_EEjEEZNS1_14transform_implILb0ES3_SA_NS6_6detail15normal_iteratorINS6_10device_ptrIS9_EEEENSD_INSE_IjEEEEZNS1_13binary_searchIS3_SA_SG_SG_SI_NS1_21lower_bound_search_opENSC_16wrapped_functionINS0_4lessIvEEbEEEE10hipError_tPvRmT1_T2_T3_mmT4_T5_P12ihipStream_tbEUlRKS9_E_EESP_ST_SU_mSV_SY_bEUlT_E_NS1_11comp_targetILNS1_3genE2ELNS1_11target_archE906ELNS1_3gpuE6ELNS1_3repE0EEENS1_30default_config_static_selectorELNS0_4arch9wavefront6targetE1EEEvSS_.kd
    .uniform_work_group_size: 1
    .uses_dynamic_stack: false
    .vgpr_count:     0
    .vgpr_spill_count: 0
    .wavefront_size: 64
  - .agpr_count:     0
    .args:
      - .offset:         0
        .size:           56
        .value_kind:     by_value
    .group_segment_fixed_size: 0
    .kernarg_segment_align: 8
    .kernarg_segment_size: 56
    .language:       OpenCL C
    .language_version:
      - 2
      - 0
    .max_flat_workgroup_size: 128
    .name:           _ZN7rocprim17ROCPRIM_400000_NS6detail17trampoline_kernelINS0_14default_configENS1_27lower_bound_config_selectorIN6thrust23THRUST_200600_302600_NS5tupleIffNS6_9null_typeES8_S8_S8_S8_S8_S8_S8_EEjEEZNS1_14transform_implILb0ES3_SA_NS6_6detail15normal_iteratorINS6_10device_ptrIS9_EEEENSD_INSE_IjEEEEZNS1_13binary_searchIS3_SA_SG_SG_SI_NS1_21lower_bound_search_opENSC_16wrapped_functionINS0_4lessIvEEbEEEE10hipError_tPvRmT1_T2_T3_mmT4_T5_P12ihipStream_tbEUlRKS9_E_EESP_ST_SU_mSV_SY_bEUlT_E_NS1_11comp_targetILNS1_3genE10ELNS1_11target_archE1201ELNS1_3gpuE5ELNS1_3repE0EEENS1_30default_config_static_selectorELNS0_4arch9wavefront6targetE1EEEvSS_
    .private_segment_fixed_size: 0
    .sgpr_count:     6
    .sgpr_spill_count: 0
    .symbol:         _ZN7rocprim17ROCPRIM_400000_NS6detail17trampoline_kernelINS0_14default_configENS1_27lower_bound_config_selectorIN6thrust23THRUST_200600_302600_NS5tupleIffNS6_9null_typeES8_S8_S8_S8_S8_S8_S8_EEjEEZNS1_14transform_implILb0ES3_SA_NS6_6detail15normal_iteratorINS6_10device_ptrIS9_EEEENSD_INSE_IjEEEEZNS1_13binary_searchIS3_SA_SG_SG_SI_NS1_21lower_bound_search_opENSC_16wrapped_functionINS0_4lessIvEEbEEEE10hipError_tPvRmT1_T2_T3_mmT4_T5_P12ihipStream_tbEUlRKS9_E_EESP_ST_SU_mSV_SY_bEUlT_E_NS1_11comp_targetILNS1_3genE10ELNS1_11target_archE1201ELNS1_3gpuE5ELNS1_3repE0EEENS1_30default_config_static_selectorELNS0_4arch9wavefront6targetE1EEEvSS_.kd
    .uniform_work_group_size: 1
    .uses_dynamic_stack: false
    .vgpr_count:     0
    .vgpr_spill_count: 0
    .wavefront_size: 64
  - .agpr_count:     0
    .args:
      - .offset:         0
        .size:           56
        .value_kind:     by_value
    .group_segment_fixed_size: 0
    .kernarg_segment_align: 8
    .kernarg_segment_size: 56
    .language:       OpenCL C
    .language_version:
      - 2
      - 0
    .max_flat_workgroup_size: 128
    .name:           _ZN7rocprim17ROCPRIM_400000_NS6detail17trampoline_kernelINS0_14default_configENS1_27lower_bound_config_selectorIN6thrust23THRUST_200600_302600_NS5tupleIffNS6_9null_typeES8_S8_S8_S8_S8_S8_S8_EEjEEZNS1_14transform_implILb0ES3_SA_NS6_6detail15normal_iteratorINS6_10device_ptrIS9_EEEENSD_INSE_IjEEEEZNS1_13binary_searchIS3_SA_SG_SG_SI_NS1_21lower_bound_search_opENSC_16wrapped_functionINS0_4lessIvEEbEEEE10hipError_tPvRmT1_T2_T3_mmT4_T5_P12ihipStream_tbEUlRKS9_E_EESP_ST_SU_mSV_SY_bEUlT_E_NS1_11comp_targetILNS1_3genE10ELNS1_11target_archE1200ELNS1_3gpuE4ELNS1_3repE0EEENS1_30default_config_static_selectorELNS0_4arch9wavefront6targetE1EEEvSS_
    .private_segment_fixed_size: 0
    .sgpr_count:     6
    .sgpr_spill_count: 0
    .symbol:         _ZN7rocprim17ROCPRIM_400000_NS6detail17trampoline_kernelINS0_14default_configENS1_27lower_bound_config_selectorIN6thrust23THRUST_200600_302600_NS5tupleIffNS6_9null_typeES8_S8_S8_S8_S8_S8_S8_EEjEEZNS1_14transform_implILb0ES3_SA_NS6_6detail15normal_iteratorINS6_10device_ptrIS9_EEEENSD_INSE_IjEEEEZNS1_13binary_searchIS3_SA_SG_SG_SI_NS1_21lower_bound_search_opENSC_16wrapped_functionINS0_4lessIvEEbEEEE10hipError_tPvRmT1_T2_T3_mmT4_T5_P12ihipStream_tbEUlRKS9_E_EESP_ST_SU_mSV_SY_bEUlT_E_NS1_11comp_targetILNS1_3genE10ELNS1_11target_archE1200ELNS1_3gpuE4ELNS1_3repE0EEENS1_30default_config_static_selectorELNS0_4arch9wavefront6targetE1EEEvSS_.kd
    .uniform_work_group_size: 1
    .uses_dynamic_stack: false
    .vgpr_count:     0
    .vgpr_spill_count: 0
    .wavefront_size: 64
  - .agpr_count:     0
    .args:
      - .offset:         0
        .size:           56
        .value_kind:     by_value
    .group_segment_fixed_size: 0
    .kernarg_segment_align: 8
    .kernarg_segment_size: 56
    .language:       OpenCL C
    .language_version:
      - 2
      - 0
    .max_flat_workgroup_size: 64
    .name:           _ZN7rocprim17ROCPRIM_400000_NS6detail17trampoline_kernelINS0_14default_configENS1_27lower_bound_config_selectorIN6thrust23THRUST_200600_302600_NS5tupleIffNS6_9null_typeES8_S8_S8_S8_S8_S8_S8_EEjEEZNS1_14transform_implILb0ES3_SA_NS6_6detail15normal_iteratorINS6_10device_ptrIS9_EEEENSD_INSE_IjEEEEZNS1_13binary_searchIS3_SA_SG_SG_SI_NS1_21lower_bound_search_opENSC_16wrapped_functionINS0_4lessIvEEbEEEE10hipError_tPvRmT1_T2_T3_mmT4_T5_P12ihipStream_tbEUlRKS9_E_EESP_ST_SU_mSV_SY_bEUlT_E_NS1_11comp_targetILNS1_3genE9ELNS1_11target_archE1100ELNS1_3gpuE3ELNS1_3repE0EEENS1_30default_config_static_selectorELNS0_4arch9wavefront6targetE1EEEvSS_
    .private_segment_fixed_size: 0
    .sgpr_count:     6
    .sgpr_spill_count: 0
    .symbol:         _ZN7rocprim17ROCPRIM_400000_NS6detail17trampoline_kernelINS0_14default_configENS1_27lower_bound_config_selectorIN6thrust23THRUST_200600_302600_NS5tupleIffNS6_9null_typeES8_S8_S8_S8_S8_S8_S8_EEjEEZNS1_14transform_implILb0ES3_SA_NS6_6detail15normal_iteratorINS6_10device_ptrIS9_EEEENSD_INSE_IjEEEEZNS1_13binary_searchIS3_SA_SG_SG_SI_NS1_21lower_bound_search_opENSC_16wrapped_functionINS0_4lessIvEEbEEEE10hipError_tPvRmT1_T2_T3_mmT4_T5_P12ihipStream_tbEUlRKS9_E_EESP_ST_SU_mSV_SY_bEUlT_E_NS1_11comp_targetILNS1_3genE9ELNS1_11target_archE1100ELNS1_3gpuE3ELNS1_3repE0EEENS1_30default_config_static_selectorELNS0_4arch9wavefront6targetE1EEEvSS_.kd
    .uniform_work_group_size: 1
    .uses_dynamic_stack: false
    .vgpr_count:     0
    .vgpr_spill_count: 0
    .wavefront_size: 64
  - .agpr_count:     0
    .args:
      - .offset:         0
        .size:           56
        .value_kind:     by_value
    .group_segment_fixed_size: 0
    .kernarg_segment_align: 8
    .kernarg_segment_size: 56
    .language:       OpenCL C
    .language_version:
      - 2
      - 0
    .max_flat_workgroup_size: 256
    .name:           _ZN7rocprim17ROCPRIM_400000_NS6detail17trampoline_kernelINS0_14default_configENS1_27lower_bound_config_selectorIN6thrust23THRUST_200600_302600_NS5tupleIffNS6_9null_typeES8_S8_S8_S8_S8_S8_S8_EEjEEZNS1_14transform_implILb0ES3_SA_NS6_6detail15normal_iteratorINS6_10device_ptrIS9_EEEENSD_INSE_IjEEEEZNS1_13binary_searchIS3_SA_SG_SG_SI_NS1_21lower_bound_search_opENSC_16wrapped_functionINS0_4lessIvEEbEEEE10hipError_tPvRmT1_T2_T3_mmT4_T5_P12ihipStream_tbEUlRKS9_E_EESP_ST_SU_mSV_SY_bEUlT_E_NS1_11comp_targetILNS1_3genE8ELNS1_11target_archE1030ELNS1_3gpuE2ELNS1_3repE0EEENS1_30default_config_static_selectorELNS0_4arch9wavefront6targetE1EEEvSS_
    .private_segment_fixed_size: 0
    .sgpr_count:     6
    .sgpr_spill_count: 0
    .symbol:         _ZN7rocprim17ROCPRIM_400000_NS6detail17trampoline_kernelINS0_14default_configENS1_27lower_bound_config_selectorIN6thrust23THRUST_200600_302600_NS5tupleIffNS6_9null_typeES8_S8_S8_S8_S8_S8_S8_EEjEEZNS1_14transform_implILb0ES3_SA_NS6_6detail15normal_iteratorINS6_10device_ptrIS9_EEEENSD_INSE_IjEEEEZNS1_13binary_searchIS3_SA_SG_SG_SI_NS1_21lower_bound_search_opENSC_16wrapped_functionINS0_4lessIvEEbEEEE10hipError_tPvRmT1_T2_T3_mmT4_T5_P12ihipStream_tbEUlRKS9_E_EESP_ST_SU_mSV_SY_bEUlT_E_NS1_11comp_targetILNS1_3genE8ELNS1_11target_archE1030ELNS1_3gpuE2ELNS1_3repE0EEENS1_30default_config_static_selectorELNS0_4arch9wavefront6targetE1EEEvSS_.kd
    .uniform_work_group_size: 1
    .uses_dynamic_stack: false
    .vgpr_count:     0
    .vgpr_spill_count: 0
    .wavefront_size: 64
  - .agpr_count:     0
    .args:
      - .offset:         0
        .size:           16
        .value_kind:     by_value
      - .offset:         16
        .size:           8
        .value_kind:     by_value
      - .offset:         24
        .size:           8
        .value_kind:     by_value
    .group_segment_fixed_size: 0
    .kernarg_segment_align: 8
    .kernarg_segment_size: 32
    .language:       OpenCL C
    .language_version:
      - 2
      - 0
    .max_flat_workgroup_size: 256
    .name:           _ZN6thrust23THRUST_200600_302600_NS11hip_rocprim14__parallel_for6kernelILj256ENS1_20__uninitialized_copy7functorINS0_10device_ptrINS0_5tupleIffNS0_9null_typeES8_S8_S8_S8_S8_S8_S8_EEEENS0_7pointerIS9_NS1_3tagENS0_11use_defaultESD_EEEEmLj1EEEvT0_T1_SH_
    .private_segment_fixed_size: 0
    .sgpr_count:     18
    .sgpr_spill_count: 0
    .symbol:         _ZN6thrust23THRUST_200600_302600_NS11hip_rocprim14__parallel_for6kernelILj256ENS1_20__uninitialized_copy7functorINS0_10device_ptrINS0_5tupleIffNS0_9null_typeES8_S8_S8_S8_S8_S8_S8_EEEENS0_7pointerIS9_NS1_3tagENS0_11use_defaultESD_EEEEmLj1EEEvT0_T1_SH_.kd
    .uniform_work_group_size: 1
    .uses_dynamic_stack: false
    .vgpr_count:     6
    .vgpr_spill_count: 0
    .wavefront_size: 64
amdhsa.target:   amdgcn-amd-amdhsa--gfx942
amdhsa.version:
  - 1
  - 2
...

	.end_amdgpu_metadata
